;; amdgpu-corpus repo=ROCm/rocFFT kind=compiled arch=gfx950 opt=O3
	.text
	.amdgcn_target "amdgcn-amd-amdhsa--gfx950"
	.amdhsa_code_object_version 6
	.protected	fft_rtc_back_len1496_factors_17_8_11_wgs_187_tpt_187_halfLds_sp_op_CI_CI_sbrr_dirReg ; -- Begin function fft_rtc_back_len1496_factors_17_8_11_wgs_187_tpt_187_halfLds_sp_op_CI_CI_sbrr_dirReg
	.globl	fft_rtc_back_len1496_factors_17_8_11_wgs_187_tpt_187_halfLds_sp_op_CI_CI_sbrr_dirReg
	.p2align	8
	.type	fft_rtc_back_len1496_factors_17_8_11_wgs_187_tpt_187_halfLds_sp_op_CI_CI_sbrr_dirReg,@function
fft_rtc_back_len1496_factors_17_8_11_wgs_187_tpt_187_halfLds_sp_op_CI_CI_sbrr_dirReg: ; @fft_rtc_back_len1496_factors_17_8_11_wgs_187_tpt_187_halfLds_sp_op_CI_CI_sbrr_dirReg
; %bb.0:
	s_load_dwordx4 s[12:15], s[0:1], 0x18
	s_load_dwordx4 s[8:11], s[0:1], 0x0
	;; [unrolled: 1-line block ×3, first 2 shown]
	v_mul_u32_u24_e32 v1, 0x15f, v0
	v_add_u32_sdwa v10, s2, v1 dst_sel:DWORD dst_unused:UNUSED_PAD src0_sel:DWORD src1_sel:WORD_1
	s_waitcnt lgkmcnt(0)
	s_load_dwordx2 s[18:19], s[12:13], 0x0
	s_load_dwordx2 s[16:17], s[14:15], 0x0
	v_mov_b32_e32 v8, 0
	v_cmp_lt_u64_e64 s[2:3], s[10:11], 2
	v_mov_b32_e32 v11, v8
	s_and_b64 vcc, exec, s[2:3]
	v_mov_b64_e32 v[6:7], 0
	s_cbranch_vccnz .LBB0_8
; %bb.1:
	s_load_dwordx2 s[2:3], s[0:1], 0x10
	s_add_u32 s20, s14, 8
	s_addc_u32 s21, s15, 0
	s_add_u32 s22, s12, 8
	s_addc_u32 s23, s13, 0
	s_waitcnt lgkmcnt(0)
	s_add_u32 s24, s2, 8
	v_mov_b64_e32 v[6:7], 0
	s_addc_u32 s25, s3, 0
	s_mov_b64 s[26:27], 1
	v_mov_b64_e32 v[2:3], v[6:7]
.LBB0_2:                                ; =>This Inner Loop Header: Depth=1
	s_load_dwordx2 s[28:29], s[24:25], 0x0
                                        ; implicit-def: $vgpr4_vgpr5
	s_waitcnt lgkmcnt(0)
	v_or_b32_e32 v9, s29, v11
	v_cmp_ne_u64_e32 vcc, 0, v[8:9]
	s_and_saveexec_b64 s[2:3], vcc
	s_xor_b64 s[30:31], exec, s[2:3]
	s_cbranch_execz .LBB0_4
; %bb.3:                                ;   in Loop: Header=BB0_2 Depth=1
	v_cvt_f32_u32_e32 v1, s28
	v_cvt_f32_u32_e32 v4, s29
	s_sub_u32 s2, 0, s28
	s_subb_u32 s3, 0, s29
	v_fmac_f32_e32 v1, 0x4f800000, v4
	v_rcp_f32_e32 v1, v1
	s_nop 0
	v_mul_f32_e32 v1, 0x5f7ffffc, v1
	v_mul_f32_e32 v4, 0x2f800000, v1
	v_trunc_f32_e32 v4, v4
	v_fmac_f32_e32 v1, 0xcf800000, v4
	v_cvt_u32_f32_e32 v9, v4
	v_cvt_u32_f32_e32 v1, v1
	v_mul_lo_u32 v4, s2, v9
	v_mul_hi_u32 v12, s2, v1
	v_mul_lo_u32 v5, s3, v1
	v_add_u32_e32 v12, v12, v4
	v_mul_lo_u32 v14, s2, v1
	v_add_u32_e32 v15, v12, v5
	v_mul_hi_u32 v4, v1, v14
	v_mul_hi_u32 v13, v1, v15
	v_mul_lo_u32 v12, v1, v15
	v_mov_b32_e32 v5, v8
	v_lshl_add_u64 v[4:5], v[4:5], 0, v[12:13]
	v_mul_hi_u32 v13, v9, v14
	v_mul_lo_u32 v14, v9, v14
	v_add_co_u32_e32 v4, vcc, v4, v14
	v_mul_hi_u32 v12, v9, v15
	s_nop 0
	v_addc_co_u32_e32 v4, vcc, v5, v13, vcc
	v_mov_b32_e32 v5, v8
	s_nop 0
	v_addc_co_u32_e32 v13, vcc, 0, v12, vcc
	v_mul_lo_u32 v12, v9, v15
	v_lshl_add_u64 v[4:5], v[4:5], 0, v[12:13]
	v_add_co_u32_e32 v1, vcc, v1, v4
	v_mul_lo_u32 v12, s2, v1
	s_nop 0
	v_addc_co_u32_e32 v9, vcc, v9, v5, vcc
	v_mul_lo_u32 v4, s2, v9
	v_mul_hi_u32 v5, s2, v1
	v_add_u32_e32 v4, v5, v4
	v_mul_lo_u32 v5, s3, v1
	v_add_u32_e32 v14, v4, v5
	v_mul_hi_u32 v16, v9, v12
	v_mul_lo_u32 v17, v9, v12
	v_mul_hi_u32 v5, v1, v14
	v_mul_lo_u32 v4, v1, v14
	v_mul_hi_u32 v12, v1, v12
	v_mov_b32_e32 v13, v8
	v_lshl_add_u64 v[4:5], v[12:13], 0, v[4:5]
	v_add_co_u32_e32 v4, vcc, v4, v17
	v_mul_hi_u32 v15, v9, v14
	s_nop 0
	v_addc_co_u32_e32 v4, vcc, v5, v16, vcc
	v_mul_lo_u32 v12, v9, v14
	s_nop 0
	v_addc_co_u32_e32 v13, vcc, 0, v15, vcc
	v_mov_b32_e32 v5, v8
	v_lshl_add_u64 v[4:5], v[4:5], 0, v[12:13]
	v_add_co_u32_e32 v1, vcc, v1, v4
	v_mul_hi_u32 v12, v10, v1
	s_nop 0
	v_addc_co_u32_e32 v9, vcc, v9, v5, vcc
	v_mad_u64_u32 v[4:5], s[2:3], v10, v9, 0
	v_mov_b32_e32 v13, v8
	v_lshl_add_u64 v[4:5], v[12:13], 0, v[4:5]
	v_mad_u64_u32 v[14:15], s[2:3], v11, v1, 0
	v_add_co_u32_e32 v1, vcc, v4, v14
	v_mad_u64_u32 v[12:13], s[2:3], v11, v9, 0
	s_nop 0
	v_addc_co_u32_e32 v4, vcc, v5, v15, vcc
	v_mov_b32_e32 v5, v8
	s_nop 0
	v_addc_co_u32_e32 v13, vcc, 0, v13, vcc
	v_lshl_add_u64 v[4:5], v[4:5], 0, v[12:13]
	v_mul_lo_u32 v1, s29, v4
	v_mul_lo_u32 v9, s28, v5
	v_mad_u64_u32 v[12:13], s[2:3], s28, v4, 0
	v_add3_u32 v1, v13, v9, v1
	v_sub_u32_e32 v9, v11, v1
	v_mov_b32_e32 v13, s29
	v_sub_co_u32_e32 v16, vcc, v10, v12
	v_lshl_add_u64 v[14:15], v[4:5], 0, 1
	s_nop 0
	v_subb_co_u32_e64 v9, s[2:3], v9, v13, vcc
	v_subrev_co_u32_e64 v12, s[2:3], s28, v16
	v_subb_co_u32_e32 v1, vcc, v11, v1, vcc
	s_nop 0
	v_subbrev_co_u32_e64 v9, s[2:3], 0, v9, s[2:3]
	v_cmp_le_u32_e64 s[2:3], s29, v9
	v_cmp_le_u32_e32 vcc, s29, v1
	s_nop 0
	v_cndmask_b32_e64 v13, 0, -1, s[2:3]
	v_cmp_le_u32_e64 s[2:3], s28, v12
	s_nop 1
	v_cndmask_b32_e64 v12, 0, -1, s[2:3]
	v_cmp_eq_u32_e64 s[2:3], s29, v9
	s_nop 1
	v_cndmask_b32_e64 v9, v13, v12, s[2:3]
	v_lshl_add_u64 v[12:13], v[4:5], 0, 2
	v_cmp_ne_u32_e64 s[2:3], 0, v9
	s_nop 1
	v_cndmask_b32_e64 v9, v15, v13, s[2:3]
	v_cndmask_b32_e64 v13, 0, -1, vcc
	v_cmp_le_u32_e32 vcc, s28, v16
	s_nop 1
	v_cndmask_b32_e64 v15, 0, -1, vcc
	v_cmp_eq_u32_e32 vcc, s29, v1
	s_nop 1
	v_cndmask_b32_e32 v1, v13, v15, vcc
	v_cmp_ne_u32_e32 vcc, 0, v1
	v_cndmask_b32_e64 v1, v14, v12, s[2:3]
	s_nop 0
	v_cndmask_b32_e32 v5, v5, v9, vcc
	v_cndmask_b32_e32 v4, v4, v1, vcc
.LBB0_4:                                ;   in Loop: Header=BB0_2 Depth=1
	s_andn2_saveexec_b64 s[2:3], s[30:31]
	s_cbranch_execz .LBB0_6
; %bb.5:                                ;   in Loop: Header=BB0_2 Depth=1
	v_cvt_f32_u32_e32 v1, s28
	s_sub_i32 s30, 0, s28
	v_rcp_iflag_f32_e32 v1, v1
	s_nop 0
	v_mul_f32_e32 v1, 0x4f7ffffe, v1
	v_cvt_u32_f32_e32 v1, v1
	v_mul_lo_u32 v4, s30, v1
	v_mul_hi_u32 v4, v1, v4
	v_add_u32_e32 v1, v1, v4
	v_mul_hi_u32 v1, v10, v1
	v_mul_lo_u32 v4, v1, s28
	v_sub_u32_e32 v4, v10, v4
	v_add_u32_e32 v5, 1, v1
	v_subrev_u32_e32 v9, s28, v4
	v_cmp_le_u32_e32 vcc, s28, v4
	s_nop 1
	v_cndmask_b32_e32 v4, v4, v9, vcc
	v_cndmask_b32_e32 v1, v1, v5, vcc
	v_add_u32_e32 v5, 1, v1
	v_cmp_le_u32_e32 vcc, s28, v4
	s_nop 1
	v_cndmask_b32_e32 v4, v1, v5, vcc
	v_mov_b32_e32 v5, v8
.LBB0_6:                                ;   in Loop: Header=BB0_2 Depth=1
	s_or_b64 exec, exec, s[2:3]
	v_mad_u64_u32 v[12:13], s[2:3], v4, s28, 0
	s_load_dwordx2 s[2:3], s[22:23], 0x0
	v_mul_lo_u32 v1, v5, s28
	v_mul_lo_u32 v9, v4, s29
	s_load_dwordx2 s[28:29], s[20:21], 0x0
	s_add_u32 s26, s26, 1
	v_add3_u32 v1, v13, v9, v1
	v_sub_co_u32_e32 v9, vcc, v10, v12
	s_addc_u32 s27, s27, 0
	s_nop 0
	v_subb_co_u32_e32 v1, vcc, v11, v1, vcc
	s_add_u32 s20, s20, 8
	s_waitcnt lgkmcnt(0)
	v_mul_lo_u32 v10, s2, v1
	v_mul_lo_u32 v11, s3, v9
	v_mad_u64_u32 v[6:7], s[2:3], s2, v9, v[6:7]
	s_addc_u32 s21, s21, 0
	v_add3_u32 v7, v11, v7, v10
	v_mul_lo_u32 v1, s28, v1
	v_mul_lo_u32 v10, s29, v9
	v_mad_u64_u32 v[2:3], s[2:3], s28, v9, v[2:3]
	s_add_u32 s22, s22, 8
	v_add3_u32 v3, v10, v3, v1
	s_addc_u32 s23, s23, 0
	v_mov_b64_e32 v[10:11], s[10:11]
	s_add_u32 s24, s24, 8
	v_cmp_ge_u64_e32 vcc, s[26:27], v[10:11]
	s_addc_u32 s25, s25, 0
	s_cbranch_vccnz .LBB0_9
; %bb.7:                                ;   in Loop: Header=BB0_2 Depth=1
	v_mov_b64_e32 v[10:11], v[4:5]
	s_branch .LBB0_2
.LBB0_8:
	v_mov_b64_e32 v[2:3], v[6:7]
	v_mov_b64_e32 v[4:5], v[10:11]
.LBB0_9:
	s_load_dwordx2 s[0:1], s[0:1], 0x28
	s_lshl_b64 s[20:21], s[10:11], 3
	s_mov_b32 s10, 0x15e75bc
	v_mul_hi_u32 v1, v0, s10
	v_mul_u32_u24_e32 v1, 0xbb, v1
	s_waitcnt lgkmcnt(0)
	v_cmp_gt_u64_e32 vcc, s[0:1], v[4:5]
	v_sub_u32_e32 v160, v0, v1
	s_movk_i32 s0, 0x58
	s_add_u32 s2, s14, s20
	v_cmp_gt_u32_e64 s[0:1], s0, v160
	v_mov_b32_e32 v8, 0
	s_addc_u32 s3, s15, s21
	s_and_b64 s[14:15], vcc, s[0:1]
	v_mov_b32_e32 v9, v8
                                        ; implicit-def: $vgpr62
                                        ; implicit-def: $vgpr34
                                        ; implicit-def: $vgpr44
                                        ; implicit-def: $vgpr18
                                        ; implicit-def: $vgpr50
                                        ; implicit-def: $vgpr22
                                        ; implicit-def: $vgpr52
                                        ; implicit-def: $vgpr28
                                        ; implicit-def: $vgpr54
                                        ; implicit-def: $vgpr16
                                        ; implicit-def: $vgpr26
                                        ; implicit-def: $vgpr20
                                        ; implicit-def: $vgpr30
                                        ; implicit-def: $vgpr24
                                        ; implicit-def: $vgpr56
                                        ; implicit-def: $vgpr32
	s_and_saveexec_b64 s[10:11], s[14:15]
	s_cbranch_execz .LBB0_11
; %bb.10:
	s_add_u32 s12, s12, s20
	s_addc_u32 s13, s13, s21
	s_load_dwordx2 s[12:13], s[12:13], 0x0
	v_add_u32_e32 v13, 0xb0, v160
	v_add_u32_e32 v15, 0x108, v160
	;; [unrolled: 1-line block ×3, first 2 shown]
	s_waitcnt lgkmcnt(0)
	v_mul_lo_u32 v8, s13, v4
	v_mul_lo_u32 v9, s12, v5
	v_mad_u64_u32 v[0:1], s[12:13], s12, v4, 0
	v_add3_u32 v1, v1, v9, v8
	v_mad_u64_u32 v[8:9], s[12:13], s18, v160, 0
	v_mov_b32_e32 v10, v9
	v_mad_u64_u32 v[10:11], s[12:13], s19, v160, v[10:11]
	v_lshl_add_u64 v[0:1], v[0:1], 3, s[4:5]
	v_mov_b32_e32 v9, v10
	v_lshl_add_u64 v[0:1], v[6:7], 3, v[0:1]
	v_add_u32_e32 v11, 0x58, v160
	v_lshl_add_u64 v[6:7], v[8:9], 3, v[0:1]
	v_mad_u64_u32 v[8:9], s[4:5], s18, v11, 0
	v_mov_b32_e32 v10, v9
	v_mad_u64_u32 v[10:11], s[4:5], s19, v11, v[10:11]
	v_mov_b32_e32 v9, v10
	v_lshl_add_u64 v[10:11], v[8:9], 3, v[0:1]
	v_mad_u64_u32 v[8:9], s[4:5], s18, v13, 0
	v_mov_b32_e32 v12, v9
	v_mad_u64_u32 v[12:13], s[4:5], s19, v13, v[12:13]
	v_mov_b32_e32 v9, v12
	;; [unrolled: 5-line block ×4, first 2 shown]
	v_add_u32_e32 v17, 0x1b8, v160
	v_lshl_add_u64 v[18:19], v[8:9], 3, v[0:1]
	v_mad_u64_u32 v[8:9], s[4:5], s18, v17, 0
	v_mov_b32_e32 v16, v9
	v_mad_u64_u32 v[16:17], s[4:5], s19, v17, v[16:17]
	v_mov_b32_e32 v9, v16
	v_add_u32_e32 v17, 0x210, v160
	v_lshl_add_u64 v[22:23], v[8:9], 3, v[0:1]
	v_mad_u64_u32 v[8:9], s[4:5], s18, v17, 0
	v_mov_b32_e32 v16, v9
	v_mad_u64_u32 v[16:17], s[4:5], s19, v17, v[16:17]
	v_mov_b32_e32 v9, v16
	;; [unrolled: 6-line block ×10, first 2 shown]
	v_lshl_add_u64 v[48:49], v[8:9], 3, v[0:1]
	global_load_dwordx2 v[8:9], v[6:7], off
	global_load_dwordx2 v[56:57], v[10:11], off
	;; [unrolled: 1-line block ×12, first 2 shown]
	v_add_u32_e32 v11, 0x528, v160
	v_mad_u64_u32 v[6:7], s[4:5], s18, v11, 0
	v_mov_b32_e32 v10, v7
	v_mad_u64_u32 v[10:11], s[4:5], s19, v11, v[10:11]
	v_mov_b32_e32 v7, v10
	v_lshl_add_u64 v[6:7], v[6:7], 3, v[0:1]
	v_or_b32_e32 v13, 0x580, v160
	global_load_dwordx2 v[28:29], v[42:43], off
	global_load_dwordx2 v[22:23], v[46:47], off
	;; [unrolled: 1-line block ×4, first 2 shown]
	v_mad_u64_u32 v[6:7], s[4:5], s18, v13, 0
	v_mov_b32_e32 v12, v7
	v_mad_u64_u32 v[12:13], s[4:5], s19, v13, v[12:13]
	v_mov_b32_e32 v7, v12
	v_lshl_add_u64 v[0:1], v[6:7], 3, v[0:1]
	global_load_dwordx2 v[32:33], v[0:1], off
	s_waitcnt vmcnt(14)
	v_mov_b32_e32 v62, v59
	v_mov_b32_e32 v63, v58
	s_waitcnt vmcnt(1)
	v_mov_b32_e32 v34, v11
	v_mov_b32_e32 v35, v10
.LBB0_11:
	s_or_b64 exec, exec, s[10:11]
	s_mov_b32 s4, 0xbf7ba420
	s_waitcnt vmcnt(0)
	v_pk_add_f32 v[72:73], v[56:57], v[32:33]
	v_pk_add_f32 v[10:11], v[56:57], v[32:33] neg_lo:[0,1] neg_hi:[0,1]
	s_mov_b32 s5, 0xbf59a7d5
	s_mov_b32 s18, 0xbe3c28d5
	v_mov_b32_e32 v78, v72
	v_mov_b32_e32 v79, v11
	s_mov_b32 s10, s5
	s_mov_b32 s11, s18
	v_pk_add_f32 v[14:15], v[62:63], v[34:35] neg_lo:[0,1] neg_hi:[0,1]
	v_pk_add_f32 v[60:61], v[62:63], v[34:35]
	s_mov_b32 s14, 0xbf06c442
	v_pk_mul_f32 v[6:7], v[78:79], s[10:11]
	s_mov_b32 s10, 0x3f6eb680
	v_mov_b32_e32 v74, v14
	v_mov_b32_e32 v75, v61
	s_mov_b32 s15, 0x3dbcf732
	s_mov_b32 s42, 0xbf7ba420
	;; [unrolled: 1-line block ×6, first 2 shown]
	v_pk_add_f32 v[12:13], v[44:45], v[18:19] neg_lo:[0,1] neg_hi:[0,1]
	v_pk_add_f32 v[58:59], v[44:45], v[18:19]
	v_pk_fma_f32 v[0:1], v[78:79], s[42:43], v[6:7] op_sel:[0,0,1] op_sel_hi:[1,1,0]
	v_pk_fma_f32 v[36:37], v[78:79], s[42:43], v[6:7] op_sel:[0,0,1] op_sel_hi:[1,1,0] neg_lo:[1,0,0] neg_hi:[1,0,0]
	v_pk_mul_f32 v[96:97], v[74:75], s[22:23]
	s_mov_b32 s25, 0x3ee437d1
	v_mov_b32_e32 v1, v37
	v_pk_fma_f32 v[36:37], v[74:75], s[24:25], v[96:97] op_sel:[0,0,1] op_sel_hi:[1,1,0]
	v_pk_fma_f32 v[38:39], v[74:75], s[24:25], v[96:97] op_sel:[0,0,1] op_sel_hi:[1,1,0] neg_lo:[0,0,1] neg_hi:[0,0,1]
	v_mov_b32_e32 v84, v13
	v_mov_b32_e32 v85, v58
	s_mov_b32 s28, 0xbf7ee86f
	s_mov_b32 s29, s5
	v_mov_b32_e32 v37, v39
	v_pk_add_f32 v[0:1], v[8:9], v[0:1] op_sel_hi:[0,1]
	v_pk_mul_f32 v[98:99], v[84:85], s[28:29]
	v_pk_add_f32 v[0:1], v[0:1], v[36:37]
	v_pk_fma_f32 v[36:37], v[84:85], s[14:15], v[98:99] op_sel:[0,0,1] op_sel_hi:[1,1,0]
	v_pk_fma_f32 v[38:39], v[84:85], s[14:15], v[98:99] op_sel:[0,0,1] op_sel_hi:[1,1,0] neg_lo:[0,0,1] neg_hi:[0,0,1]
	v_pk_add_f32 v[66:67], v[50:51], v[22:23]
	v_mov_b32_e32 v37, v39
	v_pk_add_f32 v[0:1], v[0:1], v[36:37]
	v_pk_add_f32 v[36:37], v[50:51], v[22:23] neg_lo:[0,1] neg_hi:[0,1]
	s_mov_b32 s12, 0x3f3d2fb0
	v_mov_b32_e32 v76, v37
	v_mov_b32_e32 v77, v66
	s_mov_b32 s30, 0x3f4c4adb
	s_mov_b32 s31, s12
	s_mov_b32 s26, 0x3f2c7751
	s_mov_b32 s27, 0xbf1a4643
	v_pk_mul_f32 v[102:103], v[76:77], s[30:31]
	v_pk_add_f32 v[68:69], v[52:53], v[28:29]
	v_pk_fma_f32 v[38:39], v[76:77], s[26:27], v[102:103] op_sel:[0,0,1] op_sel_hi:[1,1,0]
	v_pk_fma_f32 v[40:41], v[76:77], s[26:27], v[102:103] op_sel:[0,0,1] op_sel_hi:[1,1,0] neg_lo:[0,0,1] neg_hi:[0,0,1]
	v_mov_b32_e32 v87, v68
	v_mov_b32_e32 v39, v41
	v_pk_add_f32 v[0:1], v[0:1], v[38:39]
	v_pk_add_f32 v[38:39], v[52:53], v[28:29] neg_lo:[0,1] neg_hi:[0,1]
	s_mov_b32 s34, 0xbeb8f4ab
	v_mov_b32_e32 v86, v39
	s_mov_b32 s35, s27
	s_mov_b32 s36, 0xbf4c4adb
	;; [unrolled: 1-line block ×3, first 2 shown]
	v_pk_mul_f32 v[108:109], v[86:87], s[34:35]
	v_pk_add_f32 v[70:71], v[54:55], v[16:17]
	v_pk_fma_f32 v[40:41], v[86:87], s[36:37], v[108:109] op_sel:[0,0,1] op_sel_hi:[1,1,0]
	v_pk_fma_f32 v[42:43], v[86:87], s[36:37], v[108:109] op_sel:[0,0,1] op_sel_hi:[1,1,0] neg_lo:[0,0,1] neg_hi:[0,0,1]
	v_mov_b32_e32 v89, v70
	v_mov_b32_e32 v41, v43
	v_pk_add_f32 v[42:43], v[54:55], v[16:17] neg_lo:[0,1] neg_hi:[0,1]
	s_mov_b32 s19, s25
	v_mov_b32_e32 v88, v43
	s_mov_b32 s23, s4
	v_pk_mul_f32 v[112:113], v[88:89], s[18:19]
	v_pk_add_f32 v[0:1], v[0:1], v[40:41]
	v_pk_fma_f32 v[40:41], v[88:89], s[22:23], v[112:113] op_sel:[0,0,1] op_sel_hi:[1,1,0]
	v_pk_fma_f32 v[46:47], v[88:89], s[22:23], v[112:113] op_sel:[0,0,1] op_sel_hi:[1,1,0] neg_lo:[0,0,1] neg_hi:[0,0,1]
	v_pk_add_f32 v[64:65], v[26:27], v[20:21]
	v_mov_b32_e32 v41, v47
	v_pk_add_f32 v[0:1], v[0:1], v[40:41]
	v_pk_add_f32 v[40:41], v[26:27], v[20:21] neg_lo:[0,1] neg_hi:[0,1]
	v_mov_b32_e32 v81, v64
	v_mov_b32_e32 v80, v41
	s_mov_b32 s21, 0xbe8c1d8e
	s_mov_b32 s20, s26
	;; [unrolled: 1-line block ×4, first 2 shown]
	v_pk_mul_f32 v[130:131], v[80:81], s[20:21]
	v_pk_mul_f32 v[126:127], v[78:79], s[42:43]
	v_pk_fma_f32 v[46:47], v[80:81], s[38:39], v[130:131] op_sel:[0,0,1] op_sel_hi:[1,1,0]
	v_pk_fma_f32 v[48:49], v[80:81], s[38:39], v[130:131] op_sel:[0,0,1] op_sel_hi:[1,1,0] neg_lo:[0,0,1] neg_hi:[0,0,1]
	v_sub_f32_e32 v7, v126, v7
	v_pk_mul_f32 v[116:117], v[74:75], s[24:25]
	v_mov_b32_e32 v47, v49
	v_add_f32_e32 v7, v8, v7
	v_sub_f32_e32 v78, v97, v116
	v_pk_mul_f32 v[110:111], v[84:85], s[14:15]
	v_pk_add_f32 v[0:1], v[0:1], v[46:47]
	v_pk_add_f32 v[46:47], v[30:31], v[24:25] neg_lo:[0,1] neg_hi:[0,1]
	v_pk_add_f32 v[48:49], v[30:31], v[24:25]
	v_add_f32_e32 v7, v7, v78
	v_sub_f32_e32 v78, v99, v110
	v_pk_mul_f32 v[106:107], v[76:77], s[26:27]
	v_mov_b32_e32 v82, v47
	v_mov_b32_e32 v83, v48
	v_pk_mul_f32 v[90:91], v[80:81], s[38:39]
	s_mov_b32 s39, s15
	v_add_f32_e32 v7, v7, v78
	v_sub_f32_e32 v78, v103, v106
	v_pk_mul_f32 v[104:105], v[86:87], s[36:37]
	s_mov_b32 s40, 0x3f7ee86f
	s_mov_b32 s41, s21
	v_pk_mul_f32 v[136:137], v[82:83], s[38:39]
	v_add_f32_e32 v7, v7, v78
	v_sub_f32_e32 v78, v109, v104
	v_pk_mul_f32 v[100:101], v[88:89], s[22:23]
	v_pk_fma_f32 v[92:93], v[82:83], s[40:41], v[136:137] op_sel:[0,0,1] op_sel_hi:[1,1,0]
	v_pk_fma_f32 v[94:95], v[82:83], s[40:41], v[136:137] op_sel:[0,0,1] op_sel_hi:[1,1,0] neg_lo:[0,0,1] neg_hi:[0,0,1]
	v_add_f32_e32 v7, v7, v78
	v_sub_f32_e32 v78, v113, v100
	v_mov_b32_e32 v93, v95
	v_add_f32_e32 v7, v7, v78
	v_sub_f32_e32 v78, v131, v90
	v_pk_mul_f32 v[94:95], v[82:83], s[40:41]
	v_add_f32_e32 v7, v7, v78
	v_sub_f32_e32 v78, v137, v94
	v_pk_add_f32 v[0:1], v[0:1], v[92:93]
	v_add_f32_e32 v7, v7, v78
	v_pk_add_f32 v[78:79], v[8:9], v[56:57]
	s_and_saveexec_b64 s[42:43], s[0:1]
	s_cbranch_execz .LBB0_13
; %bb.12:
	v_mov_b32_e32 v56, v63
	v_pk_add_f32 v[114:115], v[78:79], v[56:57]
	s_mov_b32 s46, 0xbf2c7751
	v_pk_add_f32 v[114:115], v[114:115], v[44:45]
	s_mov_b32 s47, 0xbf65296c
	v_pk_add_f32 v[114:115], v[114:115], v[50:51]
	v_pk_mul_f32 v[92:93], v[10:11], s[46:47] op_sel:[1,0]
	v_pk_add_f32 v[114:115], v[114:115], v[52:53]
	v_mul_f32_e32 v93, 0xbeb8f4ab, v11
	v_pk_add_f32 v[114:115], v[114:115], v[54:55]
	v_mul_f32_e32 v119, 0x3f6eb680, v72
	v_pk_add_f32 v[114:115], v[114:115], v[26:27]
	v_mov_b32_e32 v118, v30
	v_mov_b32_e32 v115, v93
	v_pk_add_f32 v[114:115], v[114:115], v[118:119]
	v_mov_b32_e32 v120, v24
	v_mov_b32_e32 v121, v8
	s_mov_b32 s44, s46
	s_mov_b32 s45, s12
	v_pk_add_f32 v[120:121], v[114:115], v[120:121]
	v_pk_mul_f32 v[114:115], v[74:75], s[44:45]
	s_mov_b32 s39, s21
	v_mov_b32_e32 v97, v114
	v_pk_fma_f32 v[122:123], v[74:75], s[44:45], v[96:97]
	s_mov_b32 s44, s47
	v_mov_b32_e32 v122, v20
	s_mov_b32 s45, s25
	v_pk_add_f32 v[122:123], v[122:123], v[120:121]
	v_pk_mul_f32 v[120:121], v[84:85], s[44:45]
	s_mov_b32 s37, s27
	v_mov_b32_e32 v97, v120
	v_pk_fma_f32 v[124:125], v[84:85], s[44:45], v[96:97]
	s_mov_b32 s44, s28
	v_mov_b32_e32 v124, v16
	s_mov_b32 s45, s15
	v_pk_add_f32 v[124:125], v[124:125], v[122:123]
	v_pk_mul_f32 v[122:123], v[76:77], s[44:45]
	s_movk_i32 s11, 0x44
	v_mov_b32_e32 v97, v122
	v_pk_fma_f32 v[128:129], v[76:77], s[44:45], v[96:97]
	s_mov_b32 s44, s14
	v_mov_b32_e32 v128, v28
	v_pk_add_f32 v[128:129], v[128:129], v[124:125]
	v_pk_mul_f32 v[124:125], v[86:87], s[38:39]
	s_mov_b32 s45, s5
	v_mov_b32_e32 v97, v124
	v_pk_fma_f32 v[132:133], v[86:87], s[38:39], v[96:97]
	s_mov_b32 s13, s25
	v_mov_b32_e32 v132, v22
	v_pk_add_f32 v[132:133], v[132:133], v[128:129]
	v_pk_mul_f32 v[128:129], v[88:89], s[36:37]
	v_mad_u32_u24 v16, v160, s11, 0
	v_mov_b32_e32 v97, v128
	v_pk_fma_f32 v[134:135], v[88:89], s[36:37], v[96:97]
	s_mov_b32 s37, s15
	v_mov_b32_e32 v134, v18
	v_pk_add_f32 v[134:135], v[134:135], v[132:133]
	v_pk_mul_f32 v[132:133], v[80:81], s[44:45]
	s_mov_b32 s48, 0x3e3c28d5
	v_mov_b32_e32 v97, v132
	v_pk_fma_f32 v[138:139], v[80:81], s[44:45], v[96:97]
	s_mov_b32 s44, s18
	v_mov_b32_e32 v138, v35
	s_mov_b32 s45, s4
	v_pk_add_f32 v[138:139], v[138:139], v[134:135]
	v_pk_mul_f32 v[134:135], v[82:83], s[44:45]
	s_mov_b32 s49, s27
	v_mov_b32_e32 v35, v134
	v_pk_fma_f32 v[140:141], v[82:83], s[44:45], v[34:35]
	s_mov_b32 s44, s28
	v_mov_b32_e32 v140, v32
	v_pk_add_f32 v[138:139], v[140:141], v[138:139]
	v_pk_mul_f32 v[140:141], v[72:73], s[12:13] op_sel_hi:[0,1]
	ds_write2_b32 v16, v138, v139 offset1:1
	v_mov_b32_e32 v138, v8
	v_mov_b32_e32 v139, v8
	v_pk_fma_f32 v[142:143], v[10:11], s[46:47], v[140:141] op_sel:[1,0,0]
	s_mov_b32 s45, s27
	v_pk_add_f32 v[144:145], v[138:139], v[142:143]
	v_pk_mul_f32 v[142:143], v[74:75], s[36:37]
	s_mov_b32 s37, s4
	v_pk_fma_f32 v[146:147], v[74:75], s[44:45], v[142:143] op_sel:[0,0,1] op_sel_hi:[1,1,0]
	s_mov_b32 s52, 0x3f763a35
	v_pk_add_f32 v[146:147], v[144:145], v[146:147]
	v_pk_mul_f32 v[144:145], v[84:85], s[48:49]
	s_mov_b32 s53, s4
	v_pk_fma_f32 v[148:149], v[84:85], s[36:37], v[144:145] op_sel:[0,0,1] op_sel_hi:[1,1,0]
	s_mov_b32 s48, s18
	v_pk_add_f32 v[148:149], v[146:147], v[148:149]
	s_mov_b32 s49, s21
	v_pk_mul_f32 v[146:147], v[76:77], s[52:53]
	s_mov_b32 s50, s26
	v_pk_fma_f32 v[150:151], v[76:77], s[48:49], v[146:147] op_sel:[0,0,1] op_sel_hi:[1,1,0]
	s_mov_b32 s51, s5
	v_pk_add_f32 v[150:151], v[148:149], v[150:151]
	s_mov_b32 s56, 0x3f06c442
	s_mov_b32 s57, s12
	v_pk_mul_f32 v[148:149], v[86:87], s[50:51]
	s_mov_b32 s50, s34
	v_pk_fma_f32 v[152:153], v[86:87], s[56:57], v[148:149] op_sel:[0,0,1] op_sel_hi:[1,1,0]
	s_mov_b32 s51, s21
	v_pk_add_f32 v[152:153], v[150:151], v[152:153]
	s_mov_b32 s53, s10
	v_pk_mul_f32 v[150:151], v[88:89], s[50:51]
	s_mov_b32 s50, s28
	v_pk_fma_f32 v[154:155], v[88:89], s[52:53], v[150:151] op_sel:[0,0,1] op_sel_hi:[1,1,0]
	s_mov_b32 s51, s25
	v_pk_add_f32 v[154:155], v[152:153], v[154:155]
	;; [unrolled: 6-line block ×3, first 2 shown]
	s_mov_b32 s50, s24
	s_mov_b32 s51, s5
	v_pk_mul_f32 v[154:155], v[82:83], s[54:55]
	s_mov_b32 s58, s15
	v_pk_fma_f32 v[158:159], v[82:83], s[50:51], v[154:155] op_sel:[0,0,1] op_sel_hi:[1,1,0]
	s_mov_b32 s59, s21
	v_pk_add_f32 v[156:157], v[156:157], v[158:159]
	ds_write2_b32 v16, v156, v157 offset0:2 offset1:3
	s_mov_b32 s29, s38
	v_pk_mul_f32 v[156:157], v[86:87], s[56:57]
	s_mov_b32 s57, s4
	v_pk_mul_f32 v[162:163], v[72:73], s[58:59] op_sel_hi:[0,1]
	s_mov_b32 s54, s18
	s_mov_b32 s55, s5
	v_pk_fma_f32 v[158:159], v[10:11], s[28:29], v[162:163] op_sel:[1,0,0]
	v_pk_mul_f32 v[164:165], v[74:75], s[56:57]
	v_pk_add_f32 v[158:159], v[138:139], v[158:159]
	v_pk_fma_f32 v[166:167], v[74:75], s[54:55], v[164:165] op_sel:[0,0,1] op_sel_hi:[1,1,0]
	v_pk_mul_f32 v[168:169], v[84:85], s[20:21]
	v_pk_add_f32 v[166:167], v[158:159], v[166:167]
	v_pk_mul_f32 v[158:159], v[88:89], s[52:53]
	s_mov_b32 s53, s12
	v_pk_fma_f32 v[170:171], v[84:85], s[52:53], v[168:169] op_sel:[0,0,1] op_sel_hi:[1,1,0]
	s_mov_b32 s56, s47
	s_mov_b32 s57, s10
	v_pk_add_f32 v[166:167], v[166:167], v[170:171]
	v_pk_mul_f32 v[170:171], v[76:77], s[56:57]
	s_mov_b32 s46, s47
	v_pk_fma_f32 v[172:173], v[76:77], s[24:25], v[170:171] op_sel:[0,0,1] op_sel_hi:[1,1,0]
	s_mov_b32 s47, s4
	v_pk_add_f32 v[166:167], v[166:167], v[172:173]
	v_pk_mul_f32 v[172:173], v[86:87], s[18:19]
	s_mov_b32 s41, s5
	v_pk_fma_f32 v[174:175], v[86:87], s[46:47], v[172:173] op_sel:[0,0,1] op_sel_hi:[1,1,0]
	s_mov_b32 s31, s10
	v_pk_add_f32 v[166:167], v[166:167], v[174:175]
	v_pk_mul_f32 v[174:175], v[88:89], s[40:41]
	v_mov_b32_e32 v97, v6
	v_pk_fma_f32 v[176:177], v[88:89], s[14:15], v[174:175] op_sel:[0,0,1] op_sel_hi:[1,1,0]
	v_mul_f32_e32 v126, 0xbf4c4adb, v11
	v_pk_add_f32 v[166:167], v[166:167], v[176:177]
	v_pk_mul_f32 v[176:177], v[80:81], s[34:35]
	v_mul_f32_e32 v116, 0xbe8c1d8e, v61
	v_pk_fma_f32 v[178:179], v[80:81], s[30:31], v[176:177] op_sel:[0,0,1] op_sel_hi:[1,1,0]
	v_mov_b32_e32 v99, v98
	v_pk_add_f32 v[166:167], v[166:167], v[178:179]
	v_pk_mul_f32 v[178:179], v[84:85], s[36:37]
	s_mov_b32 s37, s12
	v_pk_mul_f32 v[180:181], v[82:83], s[36:37]
	v_mul_f32_e32 v110, 0x3f6eb680, v58
	v_pk_fma_f32 v[182:183], v[82:83], s[26:27], v[180:181] op_sel:[0,0,1] op_sel_hi:[1,1,0]
	v_mul_f32_e32 v98, 0xbeb8f4ab, v13
	v_pk_add_f32 v[166:167], v[166:167], v[182:183]
	ds_write2_b32 v16, v166, v167 offset0:4 offset1:5
	v_mov_b32_e32 v167, v96
	v_mul_f32_e32 v96, 0xbf1a4643, v72
	v_pk_add_f32 v[182:183], v[126:127], v[96:97]
	v_mov_b32_e32 v97, v163
	v_pk_mul_f32 v[162:163], v[10:11], s[28:29] op_sel:[1,0]
	v_mul_f32_e32 v166, 0x3f763a35, v14
	v_mov_b32_e32 v127, v163
	v_pk_add_f32 v[96:97], v[96:97], v[126:127] neg_lo:[0,1] neg_hi:[0,1]
	v_pk_mul_f32 v[126:127], v[74:75], s[54:55]
	v_pk_add_f32 v[182:183], v[138:139], v[182:183]
	v_pk_add_f32 v[184:185], v[166:167], v[116:117]
	v_mov_b32_e32 v167, v164
	v_mov_b32_e32 v117, v127
	v_pk_mul_f32 v[84:85], v[84:85], s[52:53]
	v_pk_add_f32 v[182:183], v[182:183], v[184:185]
	v_pk_add_f32 v[184:185], v[98:99], v[110:111]
	v_pk_add_f32 v[116:117], v[116:117], v[166:167] neg_lo:[0,1] neg_hi:[0,1]
	v_pk_add_f32 v[96:97], v[138:139], v[96:97]
	v_mov_b32_e32 v99, v168
	v_mov_b32_e32 v111, v85
	v_pk_add_f32 v[96:97], v[96:97], v[116:117]
	v_pk_add_f32 v[98:99], v[110:111], v[98:99] neg_lo:[0,1] neg_hi:[0,1]
	v_mov_b32_e32 v103, v102
	v_mul_f32_e32 v106, 0xbf59a7d5, v66
	v_mul_f32_e32 v102, 0xbf06c442, v37
	v_pk_add_f32 v[96:97], v[96:97], v[98:99]
	v_pk_mul_f32 v[98:99], v[76:77], s[24:25]
	v_pk_add_f32 v[182:183], v[182:183], v[184:185]
	v_pk_add_f32 v[184:185], v[102:103], v[106:107]
	v_mov_b32_e32 v109, v108
	v_mul_f32_e32 v104, 0x3dbcf732, v68
	v_mul_f32_e32 v108, 0x3f7ee86f, v39
	v_mov_b32_e32 v103, v170
	v_mov_b32_e32 v107, v99
	v_pk_mul_f32 v[86:87], v[86:87], s[46:47]
	v_pk_add_f32 v[182:183], v[182:183], v[184:185]
	v_pk_add_f32 v[184:185], v[108:109], v[104:105]
	v_mov_b32_e32 v113, v112
	v_mul_f32_e32 v100, 0x3f3d2fb0, v70
	v_mul_f32_e32 v112, 0xbf2c7751, v43
	v_pk_add_f32 v[102:103], v[106:107], v[102:103] neg_lo:[0,1] neg_hi:[0,1]
	v_mov_b32_e32 v109, v172
	v_mov_b32_e32 v105, v87
	v_pk_mul_f32 v[88:89], v[88:89], s[14:15]
	v_pk_add_f32 v[182:183], v[182:183], v[184:185]
	v_pk_add_f32 v[184:185], v[112:113], v[100:101]
	;; [unrolled: 1-line block ×3, first 2 shown]
	v_pk_add_f32 v[102:103], v[104:105], v[108:109] neg_lo:[0,1] neg_hi:[0,1]
	v_mov_b32_e32 v113, v174
	v_mov_b32_e32 v101, v89
	v_pk_add_f32 v[96:97], v[96:97], v[102:103]
	v_pk_add_f32 v[100:101], v[100:101], v[112:113] neg_lo:[0,1] neg_hi:[0,1]
	v_mov_b32_e32 v131, v130
	v_mul_f32_e32 v90, 0xbf7ba420, v64
	v_mul_f32_e32 v130, 0xbe3c28d5, v41
	v_pk_add_f32 v[96:97], v[96:97], v[100:101]
	v_pk_mul_f32 v[100:101], v[80:81], s[30:31]
	v_pk_add_f32 v[182:183], v[182:183], v[184:185]
	v_pk_add_f32 v[184:185], v[130:131], v[90:91]
	v_mov_b32_e32 v131, v176
	v_mov_b32_e32 v91, v101
	v_pk_add_f32 v[90:91], v[90:91], v[130:131] neg_lo:[0,1] neg_hi:[0,1]
	v_mov_b32_e32 v137, v136
	v_mul_f32_e32 v94, 0x3ee437d1, v48
	v_mul_f32_e32 v136, 0x3f65296c, v47
	v_pk_add_f32 v[90:91], v[96:97], v[90:91]
	v_pk_mul_f32 v[96:97], v[82:83], s[26:27]
	v_pk_add_f32 v[182:183], v[182:183], v[184:185]
	v_pk_add_f32 v[184:185], v[136:137], v[94:95]
	v_mov_b32_e32 v137, v180
	v_mov_b32_e32 v95, v97
	v_pk_add_f32 v[94:95], v[94:95], v[136:137] neg_lo:[0,1] neg_hi:[0,1]
	s_mov_b32 s41, s22
	v_pk_add_f32 v[90:91], v[90:91], v[94:95]
	ds_write2_b32 v16, v90, v91 offset0:11 offset1:12
	s_mov_b32 s46, s15
	s_mov_b32 s47, s25
	v_pk_mul_f32 v[90:91], v[10:11], s[40:41] op_sel:[1,0]
	v_pk_mul_f32 v[74:75], v[74:75], s[44:45]
	v_pk_fma_f32 v[72:73], v[72:73], s[46:47], v[90:91] op_sel_hi:[0,1,1]
	v_mov_b32_e32 v90, v165
	v_mov_b32_e32 v91, v75
	;; [unrolled: 1-line block ×3, first 2 shown]
	v_pk_add_f32 v[90:91], v[90:91], v[126:127] neg_lo:[0,1] neg_hi:[0,1]
	v_pk_add_f32 v[72:73], v[138:139], v[72:73]
	v_mov_b32_e32 v85, v144
	v_pk_add_f32 v[72:73], v[72:73], v[90:91]
	v_mov_b32_e32 v90, v169
	v_mov_b32_e32 v91, v179
	v_pk_add_f32 v[84:85], v[90:91], v[84:85] neg_lo:[0,1] neg_hi:[0,1]
	v_pk_mul_f32 v[76:77], v[76:77], s[48:49]
	v_pk_add_f32 v[72:73], v[72:73], v[84:85]
	v_mov_b32_e32 v84, v171
	v_mov_b32_e32 v85, v77
	;; [unrolled: 1-line block ×3, first 2 shown]
	v_pk_add_f32 v[84:85], v[84:85], v[98:99] neg_lo:[0,1] neg_hi:[0,1]
	v_mov_b32_e32 v87, v148
	v_pk_add_f32 v[72:73], v[72:73], v[84:85]
	v_mov_b32_e32 v84, v173
	v_mov_b32_e32 v85, v157
	v_pk_add_f32 v[84:85], v[84:85], v[86:87] neg_lo:[0,1] neg_hi:[0,1]
	v_mov_b32_e32 v89, v150
	v_pk_add_f32 v[72:73], v[72:73], v[84:85]
	v_mov_b32_e32 v84, v175
	v_mov_b32_e32 v85, v159
	v_pk_add_f32 v[84:85], v[84:85], v[88:89] neg_lo:[0,1] neg_hi:[0,1]
	v_pk_mul_f32 v[80:81], v[80:81], s[22:23]
	v_pk_add_f32 v[72:73], v[72:73], v[84:85]
	v_mov_b32_e32 v84, v177
	v_mov_b32_e32 v85, v81
	v_mov_b32_e32 v101, v152
	v_pk_add_f32 v[84:85], v[84:85], v[100:101] neg_lo:[0,1] neg_hi:[0,1]
	v_pk_mul_f32 v[82:83], v[82:83], s[50:51]
	v_pk_add_f32 v[72:73], v[72:73], v[84:85]
	v_mov_b32_e32 v84, v181
	v_mov_b32_e32 v85, v83
	;; [unrolled: 1-line block ×3, first 2 shown]
	v_pk_add_f32 v[84:85], v[84:85], v[96:97] neg_lo:[0,1] neg_hi:[0,1]
	v_mov_b32_e32 v141, v119
	v_pk_add_f32 v[72:73], v[72:73], v[84:85]
	ds_write2_b32 v16, v72, v73 offset0:13 offset1:14
	v_pk_add_f32 v[72:73], v[140:141], v[92:93] neg_lo:[0,1] neg_hi:[0,1]
	v_mov_b32_e32 v84, v143
	v_mov_b32_e32 v85, v115
	;; [unrolled: 1-line block ×3, first 2 shown]
	v_pk_add_f32 v[72:73], v[138:139], v[72:73]
	v_pk_add_f32 v[74:75], v[84:85], v[74:75] neg_lo:[0,1] neg_hi:[0,1]
	v_mov_b32_e32 v179, v120
	v_pk_add_f32 v[72:73], v[72:73], v[74:75]
	v_mov_b32_e32 v74, v145
	v_mov_b32_e32 v75, v121
	v_pk_add_f32 v[74:75], v[74:75], v[178:179] neg_lo:[0,1] neg_hi:[0,1]
	v_mov_b32_e32 v77, v122
	v_pk_add_f32 v[72:73], v[72:73], v[74:75]
	v_mov_b32_e32 v74, v147
	v_mov_b32_e32 v75, v123
	;; [unrolled: 5-line block ×6, first 2 shown]
	v_pk_add_f32 v[74:75], v[74:75], v[82:83] neg_lo:[0,1] neg_hi:[0,1]
	v_pk_add_f32 v[182:183], v[182:183], v[184:185]
	v_pk_add_f32 v[72:73], v[72:73], v[74:75]
	ds_write2_b32 v16, v182, v183 offset0:6 offset1:7
	ds_write2_b32 v16, v0, v7 offset0:8 offset1:9
	ds_write_b32 v16, v1 offset:40
	ds_write2_b32 v16, v72, v73 offset0:15 offset1:16
.LBB0_13:
	s_or_b64 exec, exec, s[42:43]
	v_mov_b32_e32 v6, v79
	v_pk_add_f32 v[62:63], v[6:7], v[62:63]
	v_mov_b32_e32 v6, v45
	v_pk_add_f32 v[44:45], v[62:63], v[6:7]
	;; [unrolled: 2-line block ×4, first 2 shown]
	v_mov_b32_e32 v32, v55
	v_mov_b32_e32 v45, v57
	s_mov_b32 s19, s14
	v_pk_add_f32 v[120:121], v[44:45], v[32:33]
	v_pk_mul_f32 v[72:73], v[10:11], s[18:19] op_sel_hi:[0,1]
	s_mov_b32 s42, s24
	s_mov_b32 s43, s22
	v_pk_fma_f32 v[44:45], v[120:121], s[4:5], v[72:73] op_sel:[1,0,0] neg_lo:[0,0,1] neg_hi:[0,0,1]
	v_pk_fma_f32 v[50:51], v[120:121], s[4:5], v[72:73] op_sel:[1,0,0]
	s_mov_b32 s11, s25
	v_pk_mul_f32 v[74:75], v[14:15], s[42:43] op_sel:[1,0]
	v_mov_b32_e32 v45, v51
	v_pk_fma_f32 v[52:53], v[60:61], s[10:11], v[74:75] op_sel_hi:[0,1,1] neg_lo:[0,0,1] neg_hi:[0,0,1]
	v_pk_fma_f32 v[54:55], v[60:61], s[10:11], v[74:75] op_sel_hi:[0,1,1]
	s_mov_b32 s44, s14
	s_mov_b32 s45, s28
	v_pk_add_f32 v[44:45], v[8:9], v[44:45] op_sel:[1,0]
	v_mov_b32_e32 v53, v55
	s_mov_b32 s42, s5
	s_mov_b32 s43, s15
	v_pk_mul_f32 v[76:77], v[12:13], s[44:45] op_sel_hi:[0,1]
	v_pk_add_f32 v[44:45], v[44:45], v[52:53]
	v_pk_fma_f32 v[52:53], v[58:59], s[42:43], v[76:77] op_sel:[1,0,0] neg_lo:[0,0,1] neg_hi:[0,0,1]
	v_pk_fma_f32 v[56:57], v[58:59], s[42:43], v[76:77] op_sel:[1,0,0]
	s_mov_b32 s28, s26
	s_mov_b32 s29, s30
	v_mov_b32_e32 v53, v57
	s_mov_b32 s13, s27
	v_pk_mul_f32 v[78:79], v[36:37], s[28:29] op_sel_hi:[0,1]
	v_pk_add_f32 v[44:45], v[44:45], v[52:53]
	v_pk_fma_f32 v[52:53], v[66:67], s[12:13], v[78:79] op_sel:[1,0,0] neg_lo:[0,0,1] neg_hi:[0,0,1]
	v_pk_fma_f32 v[62:63], v[66:67], s[12:13], v[78:79] op_sel:[1,0,0]
	s_mov_b32 s37, s34
	v_mov_b32_e32 v53, v63
	s_mov_b32 s28, s27
	s_mov_b32 s29, s10
	v_pk_mul_f32 v[80:81], v[38:39], s[36:37] op_sel_hi:[0,1]
	v_pk_add_f32 v[44:45], v[44:45], v[52:53]
	v_pk_fma_f32 v[52:53], v[68:69], s[28:29], v[80:81] op_sel:[1,0,0] neg_lo:[0,0,1] neg_hi:[0,0,1]
	v_pk_fma_f32 v[88:89], v[68:69], s[28:29], v[80:81] op_sel:[1,0,0]
	s_mov_b32 s23, s18
	v_mov_b32_e32 v53, v89
	s_mov_b32 s24, s25
	s_mov_b32 s25, s4
	v_pk_mul_f32 v[82:83], v[42:43], s[22:23] op_sel_hi:[0,1]
	v_add_f32_e32 v6, v9, v50
	v_pk_add_f32 v[44:45], v[44:45], v[52:53]
	v_pk_fma_f32 v[52:53], v[70:71], s[24:25], v[82:83] op_sel:[1,0,0] neg_lo:[0,0,1] neg_hi:[0,0,1]
	v_pk_fma_f32 v[90:91], v[70:71], s[24:25], v[82:83] op_sel:[1,0,0]
	s_mov_b32 s39, s26
	v_add_f32_e32 v6, v6, v54
	v_mov_b32_e32 v53, v91
	s_mov_b32 s18, s21
	s_mov_b32 s19, s12
	v_pk_mul_f32 v[84:85], v[40:41], s[38:39] op_sel_hi:[0,1]
	v_add_f32_e32 v6, v6, v56
	v_pk_add_f32 v[44:45], v[44:45], v[52:53]
	v_pk_fma_f32 v[52:53], v[64:65], s[18:19], v[84:85] op_sel:[1,0,0] neg_lo:[0,0,1] neg_hi:[0,0,1]
	v_pk_fma_f32 v[92:93], v[64:65], s[18:19], v[84:85] op_sel:[1,0,0]
	s_mov_b32 s41, s38
	v_add_f32_e32 v6, v6, v62
	v_mov_b32_e32 v53, v93
	s_mov_b32 s20, s15
	v_pk_mul_f32 v[86:87], v[46:47], s[40:41] op_sel_hi:[0,1]
	v_add_f32_e32 v6, v6, v88
	v_pk_add_f32 v[44:45], v[44:45], v[52:53]
	v_pk_fma_f32 v[52:53], v[48:49], s[20:21], v[86:87] op_sel:[1,0,0] neg_lo:[0,0,1] neg_hi:[0,0,1]
	v_pk_fma_f32 v[94:95], v[48:49], s[20:21], v[86:87] op_sel:[1,0,0]
	v_add_f32_e32 v6, v6, v90
	v_lshl_add_u32 v72, v160, 2, 0
	v_mov_b32_e32 v53, v95
	v_add_f32_e32 v8, v6, v92
	v_add_u32_e32 v6, 0x500, v72
	v_add_u32_e32 v50, 0xb00, v72
	;; [unrolled: 1-line block ×3, first 2 shown]
	v_pk_add_f32 v[44:45], v[44:45], v[52:53]
	s_waitcnt lgkmcnt(0)
	s_barrier
	ds_read2_b32 v[52:53], v72 offset1:187
	ds_read2_b32 v[62:63], v6 offset0:54 offset1:241
	ds_read2_b32 v[56:57], v50 offset0:44 offset1:231
	;; [unrolled: 1-line block ×3, first 2 shown]
	v_add_f32_e32 v51, v8, v94
	s_waitcnt lgkmcnt(0)
	s_barrier
	s_and_saveexec_b64 s[14:15], s[0:1]
	s_cbranch_execz .LBB0_15
; %bb.14:
	v_pk_mul_f32 v[100:101], v[60:61], s[10:11] op_sel_hi:[0,1]
	v_mov_b32_e32 v61, v15
	s_mov_b32 s1, 0xbf2c7751
	s_mov_b32 s0, 0x3f3d2fb0
	v_pk_mul_f32 v[124:125], v[60:61], s[0:1]
	v_mov_b32_e32 v118, v60
	v_mov_b32_e32 v35, v124
	;; [unrolled: 1-line block ×3, first 2 shown]
	v_pk_mul_f32 v[96:97], v[66:67], s[12:13] op_sel:[1,0]
	v_pk_fma_f32 v[126:127], v[60:61], s[0:1], v[34:35] neg_lo:[1,0,0] neg_hi:[1,0,0]
	v_mul_f32_e32 v18, 0xbe8c1d8e, v60
	v_mov_b32_e32 v60, v59
	v_mov_b32_e32 v61, v12
	s_mov_b32 s13, 0xbf65296c
	s_mov_b32 s12, 0x3ee437d1
	v_pk_mul_f32 v[90:91], v[64:65], s[18:19] op_sel:[1,0]
	v_pk_mul_f32 v[128:129], v[60:61], s[12:13]
	s_mov_b32 s18, 0x3dbcf732
	v_mov_b32_e32 v116, v59
	v_mov_b32_e32 v117, v59
	v_pk_mul_f32 v[98:99], v[58:59], s[42:43] op_sel:[1,0]
	v_mov_b32_e32 v35, v128
	v_mul_f32_e32 v22, 0x3f6eb680, v59
	v_mov_b32_e32 v58, v67
	v_mov_b32_e32 v59, v36
	s_mov_b32 s19, 0xbf7ee86f
	v_pk_fma_f32 v[60:61], v[60:61], s[12:13], v[34:35] neg_lo:[1,0,0] neg_hi:[1,0,0]
	v_pk_mul_f32 v[130:131], v[58:59], s[18:19]
	v_mov_b32_e32 v60, v27
	v_mov_b32_e32 v35, v130
	v_mul_f32_e32 v123, 0xbeb8f4ab, v10
	s_mov_b32 s26, 0xbe8c1d8e
	s_mov_b32 s23, 0x3f6eb680
	v_pk_fma_f32 v[132:133], v[58:59], s[18:19], v[34:35] neg_lo:[1,0,0] neg_hi:[1,0,0]
	v_mov_b32_e32 v58, v69
	v_mov_b32_e32 v59, v38
	s_mov_b32 s27, 0xbf763a35
	v_pk_add_f32 v[140:141], v[120:121], v[60:61]
	v_mov_b32_e32 v122, v31
	v_pk_mul_f32 v[134:135], v[58:59], s[26:27]
	v_pk_add_f32 v[140:141], v[140:141], v[122:123]
	v_pk_fma_f32 v[144:145], v[120:121], s[22:23], v[122:123] neg_lo:[0,0,1] neg_hi:[0,0,1]
	v_mov_b32_e32 v35, v134
	v_mov_b32_e32 v141, v145
	;; [unrolled: 1-line block ×6, first 2 shown]
	s_mov_b32 s11, 0xbf4c4adb
	v_mul_f32_e32 v26, 0xbf59a7d5, v67
	v_pk_fma_f32 v[66:67], v[58:59], s[26:27], v[34:35] neg_lo:[1,0,0] neg_hi:[1,0,0]
	v_mov_b32_e32 v58, v71
	v_mov_b32_e32 v59, v42
	s_mov_b32 s10, 0xbf1a4643
	v_pk_add_f32 v[140:141], v[140:141], v[144:145]
	v_mov_b32_e32 v126, v21
	v_mov_b32_e32 v112, v69
	;; [unrolled: 1-line block ×5, first 2 shown]
	v_pk_mul_f32 v[94:95], v[68:69], s[28:29] op_sel:[1,0]
	v_pk_mul_f32 v[92:93], v[70:71], s[24:25] op_sel:[1,0]
	;; [unrolled: 1-line block ×3, first 2 shown]
	s_mov_b32 s20, 0xbf59a7d5
	s_mov_b32 s21, 0xbf06c442
	v_mul_f32_e32 v30, 0x3dbcf732, v69
	v_pk_mul_f32 v[68:69], v[58:59], s[10:11]
	v_mul_f32_e32 v48, 0x3f3d2fb0, v71
	v_mov_b32_e32 v70, v65
	v_mov_b32_e32 v71, v40
	v_pk_add_f32 v[126:127], v[126:127], v[140:141]
	v_mov_b32_e32 v60, v17
	v_mov_b32_e32 v35, v68
	v_pk_mul_f32 v[138:139], v[70:71], s[20:21]
	v_pk_add_f32 v[60:61], v[60:61], v[126:127]
	v_mov_b32_e32 v132, v29
	v_pk_fma_f32 v[136:137], v[58:59], s[10:11], v[34:35] neg_lo:[1,0,0] neg_hi:[1,0,0]
	v_mov_b32_e32 v35, v138
	v_pk_add_f32 v[60:61], v[132:133], v[60:61]
	v_mov_b32_e32 v66, v23
	v_pk_fma_f32 v[70:71], v[70:71], s[20:21], v[34:35] neg_lo:[1,0,0] neg_hi:[1,0,0]
	v_pk_add_f32 v[60:61], v[66:67], v[60:61]
	v_mov_b32_e32 v136, v19
	v_pk_add_f32 v[60:61], v[136:137], v[60:61]
	v_mov_b32_e32 v35, v71
	s_mov_b32 s34, 0xbf7ba420
	v_mov_b32_e32 v106, v65
	v_mov_b32_e32 v107, v65
	v_pk_add_f32 v[70:71], v[34:35], v[60:61]
	s_mov_b32 s35, 0xbe3c28d5
	v_mul_f32_e32 v34, 0xbf7ba420, v65
	v_mov_b32_e32 v64, v49
	v_mov_b32_e32 v65, v46
	;; [unrolled: 1-line block ×4, first 2 shown]
	v_pk_mul_f32 v[102:103], v[120:121], s[4:5] op_sel:[1,0]
	v_pk_mul_f32 v[142:143], v[120:121], s[22:23]
	v_mul_f32_e32 v66, 0xbf1a4643, v121
	v_pk_mul_f32 v[120:121], v[64:65], s[34:35]
	v_mul_f32_e32 v16, 0xbf4c4adb, v10
	v_mov_b32_e32 v17, v120
	v_pk_fma_f32 v[64:65], v[64:65], s[34:35], v[16:17] neg_lo:[1,0,0] neg_hi:[1,0,0]
	v_mov_b32_e32 v11, v10
	v_mov_b32_e32 v14, v15
	;; [unrolled: 1-line block ×3, first 2 shown]
	s_mov_b32 s30, s1
	s_mov_b32 s31, s13
	;; [unrolled: 1-line block ×4, first 2 shown]
	v_mov_b32_e32 v13, v12
	v_pk_add_f32 v[64:65], v[64:65], v[70:71]
	v_pk_mul_f32 v[70:71], v[10:11], s[30:31]
	s_mov_b32 s30, s18
	s_mov_b32 s31, s10
	v_pk_mul_f32 v[132:133], v[14:15], s[36:37]
	s_mov_b32 s37, 0x3e3c28d5
	s_mov_b32 s36, s11
	;; [unrolled: 1-line block ×3, first 2 shown]
	v_mov_b32_e32 v37, v36
	v_mov_b32_e32 v8, v9
	s_mov_b32 s25, 0x3f763a35
	v_pk_mul_f32 v[126:127], v[118:119], s[30:31]
	v_pk_fma_f32 v[136:137], v[118:119], s[30:31], v[132:133] neg_lo:[0,0,1] neg_hi:[0,0,1]
	s_mov_b32 s30, s10
	s_mov_b32 s31, s34
	v_pk_mul_f32 v[144:145], v[12:13], s[36:37]
	s_mov_b32 s24, s35
	v_pk_fma_f32 v[170:171], v[108:109], s[0:1], v[70:71] neg_lo:[0,0,1] neg_hi:[0,0,1]
	v_pk_mul_f32 v[140:141], v[116:117], s[30:31]
	v_pk_fma_f32 v[146:147], v[116:117], s[30:31], v[144:145] neg_lo:[0,0,1] neg_hi:[0,0,1]
	s_mov_b32 s30, s34
	s_mov_b32 s31, s26
	v_pk_mul_f32 v[150:151], v[36:37], s[24:25]
	v_pk_mul_f32 v[168:169], v[108:109], s[0:1]
	v_pk_add_f32 v[170:171], v[8:9], v[170:171]
	v_mov_b32_e32 v39, v38
	v_pk_mul_f32 v[148:149], v[114:115], s[30:31]
	v_pk_fma_f32 v[152:153], v[114:115], s[30:31], v[150:151] neg_lo:[0,0,1] neg_hi:[0,0,1]
	s_mov_b32 s31, 0x3f2c7751
	s_mov_b32 s30, 0x3f06c442
	v_pk_add_f32 v[136:137], v[170:171], v[136:137]
	v_mov_b32_e32 v169, v143
	v_mov_b32_e32 v71, v123
	;; [unrolled: 1-line block ×4, first 2 shown]
	s_mov_b32 s5, 0xbeb8f4ab
	s_mov_b32 s38, s20
	;; [unrolled: 1-line block ×3, first 2 shown]
	v_pk_mul_f32 v[156:157], v[38:39], s[30:31]
	s_mov_b32 s4, s25
	v_pk_add_f32 v[136:137], v[136:137], v[146:147]
	s_mov_b32 s40, 0x3f65296c
	s_mov_b32 s41, s19
	v_mov_b32_e32 v127, v124
	v_mov_b32_e32 v133, v125
	v_pk_add_f32 v[70:71], v[168:169], v[70:71]
	v_pk_mul_f32 v[154:155], v[112:113], s[38:39]
	v_pk_fma_f32 v[158:159], v[112:113], s[38:39], v[156:157] neg_lo:[0,0,1] neg_hi:[0,0,1]
	s_mov_b32 s22, s26
	v_pk_mul_f32 v[164:165], v[42:43], s[4:5]
	v_pk_add_f32 v[136:137], v[136:137], v[152:153]
	s_mov_b32 s38, s12
	s_mov_b32 s39, s18
	v_pk_mul_f32 v[152:153], v[40:41], s[40:41]
	v_pk_add_f32 v[124:125], v[126:127], v[132:133]
	v_mov_b32_e32 v141, v128
	v_mov_b32_e32 v145, v129
	v_pk_add_f32 v[70:71], v[8:9], v[70:71]
	v_mov_b32_e32 v47, v46
	v_pk_fma_f32 v[166:167], v[110:111], s[22:23], v[164:165] neg_lo:[0,0,1] neg_hi:[0,0,1]
	v_pk_add_f32 v[136:137], v[136:137], v[158:159]
	v_pk_mul_f32 v[146:147], v[106:107], s[38:39]
	v_pk_fma_f32 v[158:159], v[106:107], s[38:39], v[152:153] neg_lo:[0,0,1] neg_hi:[0,0,1]
	s_mov_b32 s38, 0x3eb8f4ab
	s_mov_b32 s39, s21
	v_pk_add_f32 v[126:127], v[140:141], v[144:145]
	v_mov_b32_e32 v149, v130
	v_mov_b32_e32 v151, v131
	v_pk_add_f32 v[70:71], v[70:71], v[124:125]
	v_mov_b32_e32 v104, v49
	v_mov_b32_e32 v105, v49
	v_pk_mul_f32 v[162:163], v[110:111], s[22:23]
	v_pk_add_f32 v[136:137], v[136:137], v[166:167]
	s_mov_b32 s40, s23
	s_mov_b32 s41, s20
	v_pk_mul_f32 v[166:167], v[46:47], s[38:39]
	v_pk_add_f32 v[128:129], v[148:149], v[150:151]
	v_mov_b32_e32 v155, v134
	v_mov_b32_e32 v157, v135
	v_pk_add_f32 v[70:71], v[70:71], v[126:127]
	s_mov_b32 s29, 0x3f7ee86f
	v_pk_add_f32 v[136:137], v[136:137], v[158:159]
	v_pk_mul_f32 v[158:159], v[104:105], s[40:41]
	v_pk_fma_f32 v[170:171], v[104:105], s[40:41], v[166:167] neg_lo:[0,0,1] neg_hi:[0,0,1]
	v_pk_add_f32 v[130:131], v[154:155], v[156:157]
	v_mov_b32_e32 v163, v68
	v_mov_b32_e32 v165, v69
	v_pk_add_f32 v[70:71], v[70:71], v[128:129]
	s_mov_b32 s40, s19
	s_mov_b32 s41, s27
	;; [unrolled: 1-line block ×3, first 2 shown]
	v_pk_add_f32 v[68:69], v[162:163], v[164:165]
	v_pk_add_f32 v[70:71], v[70:71], v[130:131]
	v_mov_b32_e32 v147, v138
	v_mov_b32_e32 v153, v139
	;; [unrolled: 1-line block ×4, first 2 shown]
	v_pk_mul_f32 v[120:121], v[10:11], s[40:41]
	s_mov_b32 s42, s35
	s_mov_b32 s43, s30
	v_pk_mul_f32 v[148:149], v[42:43], s[28:29]
	s_mov_b32 s28, s18
	s_mov_b32 s29, s26
	v_pk_add_f32 v[68:69], v[70:71], v[68:69]
	v_pk_add_f32 v[70:71], v[146:147], v[152:153]
	s_mov_b32 s40, s34
	s_mov_b32 s41, s20
	v_pk_mul_f32 v[124:125], v[14:15], s[42:43]
	s_mov_b32 s30, s25
	v_pk_fma_f32 v[154:155], v[108:109], s[28:29], v[120:121] neg_lo:[0,0,1] neg_hi:[0,0,1]
	v_pk_add_f32 v[68:69], v[68:69], v[70:71]
	v_pk_add_f32 v[70:71], v[158:159], v[166:167]
	v_pk_fma_f32 v[126:127], v[118:119], s[40:41], v[124:125] neg_lo:[0,0,1] neg_hi:[0,0,1]
	s_mov_b32 s27, s0
	v_pk_mul_f32 v[130:131], v[12:13], s[30:31]
	s_mov_b32 s39, s13
	v_pk_add_f32 v[154:155], v[8:9], v[154:155]
	v_pk_add_f32 v[68:69], v[68:69], v[70:71]
	;; [unrolled: 1-line block ×3, first 2 shown]
	v_pk_mul_f32 v[122:123], v[118:119], s[40:41]
	v_pk_fma_f32 v[132:133], v[116:117], s[26:27], v[130:131] neg_lo:[0,0,1] neg_hi:[0,0,1]
	s_mov_b32 s40, s23
	s_mov_b32 s41, s12
	v_pk_mul_f32 v[136:137], v[36:37], s[38:39]
	s_mov_b32 s42, s13
	s_mov_b32 s43, s35
	v_pk_add_f32 v[126:127], v[154:155], v[126:127]
	v_pk_mul_f32 v[134:135], v[114:115], s[40:41]
	v_pk_fma_f32 v[138:139], v[114:115], s[40:41], v[136:137] neg_lo:[0,0,1] neg_hi:[0,0,1]
	s_mov_b32 s40, s12
	s_mov_b32 s41, s34
	v_pk_mul_f32 v[142:143], v[38:39], s[42:43]
	v_pk_add_f32 v[126:127], v[126:127], v[132:133]
	s_mov_b32 s30, s13
	v_mul_f32_e32 v32, 0x3f7ee86f, v38
	v_pk_mul_f32 v[140:141], v[112:113], s[40:41]
	v_pk_fma_f32 v[144:145], v[112:113], s[40:41], v[142:143] neg_lo:[0,0,1] neg_hi:[0,0,1]
	s_mov_b32 s40, s20
	s_mov_b32 s41, s18
	v_pk_add_f32 v[126:127], v[126:127], v[138:139]
	s_mov_b32 s4, 0x3f4c4adb
	s_mov_b32 s36, s25
	;; [unrolled: 1-line block ×5, first 2 shown]
	v_pk_mul_f32 v[38:39], v[38:39], s[30:31]
	v_pk_mul_f32 v[146:147], v[110:111], s[40:41]
	v_pk_fma_f32 v[150:151], v[110:111], s[40:41], v[148:149] neg_lo:[0,0,1] neg_hi:[0,0,1]
	v_pk_mul_f32 v[152:153], v[108:109], s[28:29]
	v_pk_add_f32 v[126:127], v[126:127], v[144:145]
	s_mov_b32 s22, s10
	v_pk_mul_f32 v[138:139], v[40:41], s[4:5]
	s_mov_b32 s28, s31
	s_mov_b32 s29, s11
	;; [unrolled: 1-line block ×4, first 2 shown]
	v_pk_fma_f32 v[38:39], v[112:113], s[24:25], v[38:39]
	s_mov_b32 s24, s21
	s_mov_b32 s25, s5
	v_mul_f32_e32 v20, 0x3f763a35, v15
	v_mul_f32_e32 v58, 0xbf2c7751, v42
	v_pk_add_f32 v[126:127], v[126:127], v[150:151]
	v_pk_mul_f32 v[132:133], v[106:107], s[22:23]
	v_pk_fma_f32 v[144:145], v[106:107], s[22:23], v[138:139] neg_lo:[0,0,1] neg_hi:[0,0,1]
	v_pk_mul_f32 v[150:151], v[46:47], s[28:29]
	s_mov_b32 s28, s34
	s_mov_b32 s29, s10
	v_pk_mul_f32 v[14:15], v[14:15], s[40:41]
	s_mov_b32 s22, s20
	v_pk_mul_f32 v[42:43], v[42:43], s[24:25]
	v_pk_fma_f32 v[14:15], v[118:119], s[28:29], v[14:15]
	s_mov_b32 s28, s23
	v_pk_fma_f32 v[42:43], v[110:111], s[22:23], v[42:43]
	s_mov_b32 s23, s12
	s_mov_b32 s12, s19
	s_mov_b32 s22, s18
	v_pk_mul_f32 v[10:11], v[10:11], s[12:13]
	v_mul_f32_e32 v24, 0xbeb8f4ab, v12
	v_pk_fma_f32 v[10:11], v[108:109], s[22:23], v[10:11]
	v_pk_mul_f32 v[128:129], v[116:117], s[26:27]
	s_mov_b32 s27, s34
	v_pk_mul_f32 v[12:13], v[12:13], s[36:37]
	v_pk_add_f32 v[10:11], v[8:9], v[10:11]
	v_mul_f32_e32 v28, 0xbf06c442, v36
	v_pk_fma_f32 v[12:13], v[116:117], s[26:27], v[12:13]
	s_mov_b32 s29, s26
	v_pk_mul_f32 v[36:37], v[36:37], s[38:39]
	v_pk_add_f32 v[10:11], v[10:11], v[14:15]
	v_pk_fma_f32 v[36:37], v[114:115], s[28:29], v[36:37]
	v_pk_add_f32 v[10:11], v[10:11], v[12:13]
	s_mov_b32 s5, s19
	v_pk_add_f32 v[10:11], v[10:11], v[36:37]
	s_mov_b32 s1, s10
	;; [unrolled: 2-line block ×3, first 2 shown]
	v_pk_mul_f32 v[12:13], v[40:41], s[4:5]
	v_pk_add_f32 v[126:127], v[126:127], v[144:145]
	v_pk_mul_f32 v[144:145], v[104:105], s[0:1]
	v_pk_fma_f32 v[154:155], v[104:105], s[0:1], v[150:151] neg_lo:[0,0,1] neg_hi:[0,0,1]
	v_pk_add_f32 v[10:11], v[10:11], v[42:43]
	v_pk_fma_f32 v[12:13], v[106:107], s[10:11], v[12:13]
	s_mov_b32 s1, s20
	s_mov_b32 s20, s31
	v_mov_b32_e32 v67, v153
	v_mov_b32_e32 v17, v121
	v_pk_add_f32 v[10:11], v[10:11], v[12:13]
	v_pk_mul_f32 v[12:13], v[46:47], s[20:21]
	v_mul_f32_e32 v150, 0x3f65296c, v46
	v_mov_b32_e32 v19, v123
	v_mov_b32_e32 v21, v125
	v_pk_add_f32 v[46:47], v[66:67], v[16:17]
	v_mov_b32_e32 v67, v103
	v_mov_b32_e32 v17, v73
	v_pk_add_f32 v[14:15], v[18:19], v[20:21]
	v_mov_b32_e32 v23, v129
	v_mov_b32_e32 v25, v131
	v_pk_add_f32 v[46:47], v[8:9], v[46:47]
	v_pk_add_f32 v[16:17], v[66:67], v[16:17] neg_lo:[0,1] neg_hi:[0,1]
	v_mov_b32_e32 v19, v101
	v_mov_b32_e32 v21, v75
	v_pk_add_f32 v[36:37], v[22:23], v[24:25]
	v_mov_b32_e32 v27, v135
	v_mov_b32_e32 v29, v137
	v_pk_add_f32 v[14:15], v[46:47], v[14:15]
	v_pk_add_f32 v[8:9], v[8:9], v[16:17]
	v_pk_add_f32 v[16:17], v[18:19], v[20:21] neg_lo:[0,1] neg_hi:[0,1]
	v_mov_b32_e32 v23, v99
	v_mov_b32_e32 v25, v77
	v_pk_add_f32 v[38:39], v[26:27], v[28:29]
	v_mov_b32_e32 v31, v141
	v_mov_b32_e32 v33, v143
	v_pk_add_f32 v[14:15], v[14:15], v[36:37]
	v_pk_add_f32 v[8:9], v[8:9], v[16:17]
	v_pk_add_f32 v[16:17], v[22:23], v[24:25] neg_lo:[0,1] neg_hi:[0,1]
	v_mov_b32_e32 v27, v97
	v_mov_b32_e32 v29, v79
	v_mul_f32_e32 v60, 0xbe3c28d5, v40
	v_mul_f32_e32 v144, 0x3ee437d1, v49
	v_pk_add_f32 v[40:41], v[30:31], v[32:33]
	v_mov_b32_e32 v49, v147
	v_mov_b32_e32 v59, v149
	v_pk_add_f32 v[14:15], v[14:15], v[38:39]
	v_pk_add_f32 v[8:9], v[8:9], v[16:17]
	v_pk_add_f32 v[16:17], v[26:27], v[28:29] neg_lo:[0,1] neg_hi:[0,1]
	v_mov_b32_e32 v31, v95
	v_mov_b32_e32 v33, v81
	v_pk_add_f32 v[42:43], v[48:49], v[58:59]
	v_pk_add_f32 v[14:15], v[14:15], v[40:41]
	v_mov_b32_e32 v35, v133
	v_mov_b32_e32 v61, v139
	v_pk_add_f32 v[8:9], v[8:9], v[16:17]
	v_pk_add_f32 v[16:17], v[30:31], v[32:33] neg_lo:[0,1] neg_hi:[0,1]
	v_mov_b32_e32 v49, v93
	v_mov_b32_e32 v59, v83
	v_pk_add_f32 v[14:15], v[14:15], v[42:43]
	v_pk_add_f32 v[36:37], v[34:35], v[60:61]
	;; [unrolled: 1-line block ×3, first 2 shown]
	v_pk_add_f32 v[16:17], v[48:49], v[58:59] neg_lo:[0,1] neg_hi:[0,1]
	v_mov_b32_e32 v35, v91
	v_mov_b32_e32 v61, v85
	v_pk_add_f32 v[14:15], v[14:15], v[36:37]
	v_pk_add_f32 v[36:37], v[144:145], v[150:151]
	;; [unrolled: 1-line block ×3, first 2 shown]
	v_pk_add_f32 v[16:17], v[34:35], v[60:61] neg_lo:[0,1] neg_hi:[0,1]
	v_mov_b32_e32 v145, v89
	v_mov_b32_e32 v151, v87
	v_pk_add_f32 v[8:9], v[8:9], v[16:17]
	v_pk_add_f32 v[16:17], v[144:145], v[150:151] neg_lo:[0,1] neg_hi:[0,1]
	v_pk_fma_f32 v[12:13], v[104:105], s[0:1], v[12:13]
	v_pk_add_f32 v[8:9], v[8:9], v[16:17]
	v_lshl_add_u32 v16, v160, 6, v72
	v_pk_add_f32 v[10:11], v[10:11], v[12:13]
	v_pk_add_f32 v[12:13], v[126:127], v[154:155]
	;; [unrolled: 1-line block ×3, first 2 shown]
	ds_write2_b32 v16, v64, v65 offset1:1
	ds_write2_b32 v16, v70, v71 offset0:2 offset1:3
	ds_write2_b32 v16, v12, v13 offset0:4 offset1:5
	;; [unrolled: 1-line block ×4, first 2 shown]
	ds_write_b32 v16, v45 offset:40
	ds_write2_b32 v16, v14, v15 offset0:11 offset1:12
	ds_write2_b32 v16, v10, v11 offset0:13 offset1:14
	;; [unrolled: 1-line block ×3, first 2 shown]
.LBB0_15:
	s_or_b64 exec, exec, s[14:15]
	s_movk_i32 s0, 0xf1
	v_mul_lo_u16_sdwa v8, v160, s0 dst_sel:DWORD dst_unused:UNUSED_PAD src0_sel:BYTE_0 src1_sel:DWORD
	v_lshrrev_b16_e32 v30, 12, v8
	v_mul_lo_u16_e32 v8, 17, v30
	v_sub_u16_e32 v32, v160, v8
	v_mov_b32_e32 v8, 7
	v_mul_u32_u24_sdwa v8, v32, v8 dst_sel:DWORD dst_unused:UNUSED_PAD src0_sel:BYTE_0 src1_sel:DWORD
	v_lshlrev_b32_e32 v18, 3, v8
	s_load_dwordx2 s[4:5], s[2:3], 0x0
	s_waitcnt lgkmcnt(0)
	s_barrier
	global_load_dwordx4 v[8:11], v18, s[8:9]
	global_load_dwordx4 v[12:15], v18, s[8:9] offset:16
	global_load_dwordx4 v[20:23], v18, s[8:9] offset:32
	global_load_dwordx2 v[16:17], v18, s[8:9] offset:48
	ds_read2_b32 v[18:19], v72 offset1:187
	ds_read2_b32 v[24:25], v6 offset0:54 offset1:241
	ds_read2_b32 v[26:27], v50 offset0:44 offset1:231
	;; [unrolled: 1-line block ×3, first 2 shown]
	v_mov_b32_e32 v6, 2
	v_mul_u32_u24_e32 v41, 0x220, v30
	v_lshlrev_b32_sdwa v46, v6, v32 dst_sel:DWORD dst_unused:UNUSED_PAD src0_sel:DWORD src1_sel:BYTE_0
	s_waitcnt lgkmcnt(3)
	v_mov_b32_e32 v31, v18
	s_mov_b32 s10, 0x3f3504f3
	s_mov_b32 s11, 2.0
	s_movk_i32 s0, 0x88
	s_movk_i32 s2, 0x87
	v_cmp_gt_u32_e64 s[0:1], s0, v160
	v_cmp_lt_u32_e64 s[2:3], s2, v160
	s_waitcnt lgkmcnt(0)
	s_barrier
	s_waitcnt vmcnt(3)
	v_mul_f32_e32 v6, v19, v9
	v_mul_f32_e32 v33, v53, v9
	;; [unrolled: 1-line block ×4, first 2 shown]
	s_waitcnt vmcnt(2)
	v_mul_f32_e32 v34, v25, v13
	v_mul_f32_e32 v11, v63, v13
	s_waitcnt vmcnt(1)
	v_mul_f32_e32 v13, v27, v21
	v_mul_f32_e32 v37, v54, v23
	;; [unrolled: 3-line block ×3, first 2 shown]
	v_mul_f32_e32 v35, v19, v8
	v_mul_f32_e32 v32, v26, v15
	v_mov_b32_e32 v38, v22
	v_mov_b32_e32 v39, v15
	v_fmac_f32_e32 v6, v53, v8
	v_fmac_f32_e32 v30, v62, v10
	v_fma_f32 v19, v24, v10, -v9
	v_fma_f32 v8, v25, v12, -v11
	v_fmac_f32_e32 v13, v57, v20
	v_fma_f32 v10, v28, v22, -v37
	v_fmac_f32_e32 v36, v55, v16
	v_fma_f32 v11, v29, v16, -v17
	v_mov_b32_e32 v55, v56
	v_mul_f32_e32 v21, v57, v21
	v_mov_b32_e32 v40, v23
	v_mov_b32_e32 v42, v23
	v_mov_b32_e32 v43, v14
	v_fmac_f32_e32 v32, v56, v14
	v_mov_b32_e32 v29, v26
	v_sub_f32_e32 v22, v19, v10
	v_sub_f32_e32 v16, v6, v13
	;; [unrolled: 1-line block ×3, first 2 shown]
	v_pk_mul_f32 v[10:11], v[54:55], v[38:39]
	v_fma_f32 v9, v27, v20, -v21
	v_fma_f32 v17, v6, 2.0, -v16
	v_fma_f32 v21, v8, 2.0, -v14
	v_add_f32_e32 v6, v16, v14
	v_pk_fma_f32 v[14:15], v[28:29], v[40:41], v[10:11]
	v_pk_fma_f32 v[10:11], v[28:29], v[42:43], v[10:11] neg_lo:[0,0,1] neg_hi:[0,0,1]
	v_mov_b32_e32 v53, v35
	v_mov_b32_e32 v15, v11
	v_fmac_f32_e32 v34, v63, v12
	v_pk_add_f32 v[12:13], v[52:53], v[32:33] neg_lo:[0,1] neg_hi:[0,1]
	v_pk_add_f32 v[28:29], v[30:31], v[14:15] neg_lo:[0,1] neg_hi:[0,1]
	v_fma_f32 v35, v52, 2.0, -v12
	v_mov_b32_e32 v23, v13
	v_mov_b32_e32 v8, v12
	v_fma_f32 v37, v30, 2.0, -v28
	v_fma_f32 v10, v16, 2.0, -v6
	v_pk_add_f32 v[24:25], v[22:23], v[12:13]
	v_pk_add_f32 v[8:9], v[12:13], v[8:9] neg_lo:[0,1] neg_hi:[0,1]
	v_pk_add_f32 v[26:27], v[34:35], v[36:37] neg_lo:[0,1] neg_hi:[0,1]
	v_add_f32_e32 v11, v35, v35
	v_mul_f32_e32 v20, 0x3f3504f3, v10
	v_mov_b32_e32 v25, v9
	v_mov_b32_e32 v10, v9
	v_fma_f32 v8, v34, 2.0, -v26
	v_pk_fma_f32 v[30:31], v[12:13], 2.0, v[24:25] op_sel_hi:[1,0,1] neg_lo:[0,0,1] neg_hi:[0,0,1]
	v_pk_add_f32 v[34:35], v[10:11], v[26:27] neg_lo:[0,1] neg_hi:[0,1]
	v_sub_f32_e32 v25, v17, v8
	v_fma_f32 v8, v9, 2.0, -v34
	v_fma_f32 v9, v17, 2.0, -v25
	v_fmamk_f32 v16, v6, 0x3f3504f3, v24
	v_pk_add_f32 v[32:33], v[30:31], v[20:21] neg_lo:[0,1] neg_hi:[0,1]
	v_mul_f32_e32 v26, 0x3f3504f3, v8
	v_sub_f32_e32 v17, v35, v9
	v_pk_add_f32 v[10:11], v[26:27], v[32:33]
	v_pk_fma_f32 v[12:13], v[34:35], s[10:11], v[16:17]
	v_fma_f32 v9, v30, 2.0, -v10
	v_pk_fma_f32 v[36:37], v[34:35], s[10:11], v[16:17] neg_lo:[0,0,1] neg_hi:[0,0,1]
	v_fma_f32 v14, v27, 2.0, -v11
	v_fma_f32 v15, v24, 2.0, -v12
	v_add3_u32 v16, 0, v41, v46
	ds_write2_b32 v16, v37, v9 offset1:17
	ds_write2_b32 v16, v14, v15 offset0:34 offset1:51
	ds_write2_b32 v16, v17, v10 offset0:68 offset1:85
	;; [unrolled: 1-line block ×3, first 2 shown]
	s_waitcnt lgkmcnt(0)
	s_barrier
	s_and_saveexec_b64 s[12:13], s[2:3]
	s_xor_b64 s[12:13], exec, s[12:13]
; %bb.16:
	v_mov_b32_e32 v13, v37
; %bb.17:
	s_or_saveexec_b64 s[12:13], s[12:13]
	v_mul_f32_e32 v24, 0x3f3504f3, v6
	v_pk_mul_f32 v[34:35], v[34:35], s[10:11]
	s_xor_b64 exec, exec, s[12:13]
	s_cbranch_execz .LBB0_19
; %bb.18:
	v_add_u32_e32 v1, 0x800, v72
	ds_read2_b32 v[36:37], v1 offset0:32 offset1:168
	v_add_u32_e32 v1, 0x1000, v72
	ds_read2_b32 v[8:9], v72 offset1:136
	ds_read2_b32 v[6:7], v1 offset0:64 offset1:200
	v_add_u32_e32 v1, 0xc00, v72
	v_add_u32_e32 v0, 0x400, v72
	ds_read2_b32 v[12:13], v1 offset0:48 offset1:184
	ds_read2_b32 v[14:15], v0 offset0:16 offset1:152
	ds_read_b32 v1, v72 offset:5440
	s_waitcnt lgkmcnt(5)
	v_mov_b32_e32 v10, v37
	s_waitcnt lgkmcnt(3)
	v_mov_b32_e32 v0, v6
	;; [unrolled: 2-line block ×3, first 2 shown]
	v_mov_b32_e32 v12, v13
	v_mov_b32_e32 v13, v8
	;; [unrolled: 1-line block ×3, first 2 shown]
.LBB0_19:
	s_or_b64 exec, exec, s[12:13]
	v_add_f32_e32 v23, v18, v18
	v_fma_f32 v19, v19, 2.0, -v22
	v_mov_b32_e32 v22, v29
	v_pk_add_f32 v[36:37], v[22:23], v[28:29] neg_lo:[0,1] neg_hi:[0,1]
	v_mov_b32_e32 v18, v34
	v_fma_f32 v21, v31, 2.0, -v33
	v_pk_add_f32 v[30:31], v[36:37], v[18:19] neg_lo:[0,1] neg_hi:[0,1]
	v_add_f32_e32 v39, v37, v37
	v_fma_f32 v38, v29, 2.0, -v36
	v_pk_add_f32 v[28:29], v[36:37], v[34:35]
	v_mov_b32_e32 v27, v31
	v_mov_b32_e32 v29, v31
	v_pk_add_f32 v[18:19], v[38:39], v[26:27] neg_lo:[0,1] neg_hi:[0,1]
	v_pk_add_f32 v[24:25], v[28:29], v[24:25] neg_lo:[0,1] neg_hi:[0,1]
	;; [unrolled: 1-line block ×3, first 2 shown]
	v_fma_f32 v20, v31, 2.0, -v25
	v_fma_f32 v18, v19, 2.0, -v23
	;; [unrolled: 1-line block ×4, first 2 shown]
	s_waitcnt lgkmcnt(0)
	s_barrier
	ds_write2_b32 v16, v18, v19 offset1:17
	ds_write2_b32 v16, v20, v21 offset0:34 offset1:51
	ds_write2_b32 v16, v23, v22 offset0:68 offset1:85
	;; [unrolled: 1-line block ×3, first 2 shown]
	s_waitcnt lgkmcnt(0)
	s_barrier
	s_and_saveexec_b64 s[10:11], s[2:3]
	s_xor_b64 s[2:3], exec, s[10:11]
	s_cbranch_execnz .LBB0_23
; %bb.20:
	s_andn2_saveexec_b64 s[2:3], s[2:3]
	s_cbranch_execnz .LBB0_24
.LBB0_21:
	s_or_b64 exec, exec, s[2:3]
	s_and_b64 s[0:1], vcc, s[0:1]
	s_and_saveexec_b64 s[2:3], s[0:1]
	s_cbranch_execnz .LBB0_25
.LBB0_22:
	s_endpgm
.LBB0_23:
                                        ; implicit-def: $vgpr72
	s_andn2_saveexec_b64 s[2:3], s[2:3]
	s_cbranch_execz .LBB0_21
.LBB0_24:
	v_add_u32_e32 v6, 0x400, v72
	ds_read2_b32 v[20:21], v6 offset0:16 offset1:152
	v_add_u32_e32 v6, 0xc00, v72
	v_add_u32_e32 v8, 0x1000, v72
	ds_read2_b32 v[18:19], v72 offset1:136
	ds_read2_b32 v[50:51], v8 offset0:64 offset1:200
	ds_read2_b32 v[22:23], v6 offset0:48 offset1:184
	v_add_u32_e32 v6, 0x800, v72
	ds_read2_b32 v[26:27], v6 offset0:32 offset1:168
	ds_read_b32 v45, v72 offset:5440
	s_waitcnt lgkmcnt(3)
	v_mov_b32_e32 v44, v50
	s_waitcnt lgkmcnt(2)
	v_mov_b32_e32 v24, v23
	v_mov_b32_e32 v25, v22
	s_waitcnt lgkmcnt(1)
	v_mov_b32_e32 v22, v27
	v_mov_b32_e32 v23, v26
	s_or_b64 exec, exec, s[2:3]
	s_and_b64 s[0:1], vcc, s[0:1]
	s_and_saveexec_b64 s[2:3], s[0:1]
	s_cbranch_execz .LBB0_22
.LBB0_25:
	v_mul_u32_u24_e32 v6, 10, v160
	v_lshlrev_b32_e32 v6, 3, v6
	global_load_dwordx4 v[26:29], v6, s[8:9] offset:952
	global_load_dwordx4 v[30:33], v6, s[8:9] offset:1016
	;; [unrolled: 1-line block ×5, first 2 shown]
	v_mul_lo_u32 v55, s5, v4
	v_mul_lo_u32 v56, s4, v5
	v_mad_u64_u32 v[42:43], s[0:1], s4, v4, 0
	v_mad_u64_u32 v[52:53], s[0:1], s16, v160, 0
	v_mov_b32_e32 v5, v18
	v_add3_u32 v43, v43, v56, v55
	v_mov_b32_e32 v18, v53
	v_mad_u64_u32 v[58:59], s[0:1], s17, v160, v[18:19]
	v_lshl_add_u64 v[42:43], v[42:43], 3, s[6:7]
	v_mov_b32_e32 v53, v58
	v_lshl_add_u64 v[42:43], v[2:3], 3, v[42:43]
	v_mov_b32_e32 v6, v51
	v_mov_b32_e32 v16, v21
	;; [unrolled: 1-line block ×3, first 2 shown]
	v_lshl_add_u64 v[2:3], v[52:53], 3, v[42:43]
	v_mov_b32_e32 v8, v7
	v_mov_b32_e32 v54, v17
	;; [unrolled: 1-line block ×3, first 2 shown]
	v_add_u32_e32 v80, 0x88, v160
	v_mad_u64_u32 v[56:57], s[0:1], s16, v80, 0
	v_mov_b32_e32 v18, v57
	s_mov_b32 s3, 0xbf68dda4
	s_mov_b32 s2, 0x3ed4b147
	;; [unrolled: 1-line block ×24, first 2 shown]
	s_waitcnt vmcnt(4)
	v_mul_f32_e32 v52, v19, v27
	v_mul_f32_e32 v27, v9, v27
	v_mov_b32_e32 v60, v29
	v_mov_b32_e32 v61, v28
	v_pk_mul_f32 v[14:15], v[14:15], v[28:29] op_sel_hi:[0,1]
	s_waitcnt vmcnt(3)
	v_pk_mul_f32 v[6:7], v[6:7], v[30:31] op_sel_hi:[0,1]
	s_waitcnt vmcnt(2) lgkmcnt(0)
	v_pk_mul_f32 v[28:29], v[44:45], v[36:37] op_sel_hi:[0,1]
	s_waitcnt vmcnt(1)
	v_pk_mul_f32 v[16:17], v[16:17], v[38:39] op_sel_hi:[0,1]
	v_fmac_f32_e32 v52, v9, v26
	v_fma_f32 v53, v19, v26, -v27
	v_pk_fma_f32 v[70:71], v[20:21], v[60:61], v[14:15] op_sel_hi:[0,1,1]
	v_pk_fma_f32 v[20:21], v[20:21], v[60:61], v[14:15] op_sel_hi:[0,1,1] neg_lo:[0,0,1] neg_hi:[0,0,1]
	v_pk_mul_f32 v[58:59], v[44:45], v[32:33] op_sel:[1,0]
	v_pk_mul_f32 v[44:45], v[24:25], v[34:35] op_sel_hi:[0,1]
	v_pk_mul_f32 v[62:63], v[22:23], v[40:41] op_sel:[1,0]
	v_pk_fma_f32 v[66:67], v[8:9], v[30:31], v[6:7] op_sel:[0,0,1] op_sel_hi:[0,1,0]
	v_pk_fma_f32 v[68:69], v[8:9], v[30:31], v[6:7] op_sel:[0,0,1] op_sel_hi:[0,1,0] neg_lo:[1,0,0] neg_hi:[1,0,0]
	v_pk_fma_f32 v[60:61], v[0:1], v[36:37], v[28:29] op_sel:[0,0,1] op_sel_hi:[0,1,0]
	v_pk_fma_f32 v[72:73], v[0:1], v[36:37], v[28:29] op_sel:[0,0,1] op_sel_hi:[0,1,0] neg_lo:[1,0,0] neg_hi:[1,0,0]
	;; [unrolled: 2-line block ×3, first 2 shown]
	v_mov_b32_e32 v8, v70
	v_mov_b32_e32 v9, v21
	v_pk_add_f32 v[28:29], v[4:5], v[52:53]
	s_waitcnt vmcnt(0)
	v_pk_mul_f32 v[24:25], v[24:25], v[48:49] op_sel:[1,0]
	v_pk_mul_f32 v[22:23], v[22:23], v[46:47] op_sel_hi:[0,1]
	v_pk_fma_f32 v[50:51], v[12:13], v[34:35], v[44:45] op_sel:[0,0,1] op_sel_hi:[0,1,0]
	v_pk_fma_f32 v[76:77], v[12:13], v[34:35], v[44:45] op_sel:[0,0,1] op_sel_hi:[0,1,0] neg_lo:[1,0,0] neg_hi:[1,0,0]
	v_pk_fma_f32 v[44:45], v[54:55], v[40:41], v[62:63] op_sel:[0,0,1] op_sel_hi:[0,1,0]
	v_pk_fma_f32 v[54:55], v[54:55], v[40:41], v[62:63] op_sel:[0,0,1] op_sel_hi:[0,1,0] neg_lo:[1,0,0] neg_hi:[1,0,0]
	v_mov_b32_e32 v12, v74
	v_mov_b32_e32 v13, v39
	v_pk_add_f32 v[8:9], v[28:29], v[8:9]
	v_pk_fma_f32 v[62:63], v[10:11], v[48:49], v[24:25] op_sel:[1,0,1] op_sel_hi:[1,1,0]
	v_pk_fma_f32 v[24:25], v[10:11], v[48:49], v[24:25] op_sel:[1,0,1] op_sel_hi:[1,1,0] neg_lo:[1,0,0] neg_hi:[1,0,0]
	v_pk_fma_f32 v[48:49], v[10:11], v[46:47], v[22:23] op_sel:[0,0,1] op_sel_hi:[0,1,0]
	v_pk_fma_f32 v[78:79], v[10:11], v[46:47], v[22:23] op_sel:[0,0,1] op_sel_hi:[0,1,0] neg_lo:[1,0,0] neg_hi:[1,0,0]
	v_mov_b32_e32 v16, v44
	v_mov_b32_e32 v17, v55
	v_pk_add_f32 v[8:9], v[8:9], v[12:13]
	v_mov_b32_e32 v26, v48
	v_mov_b32_e32 v27, v79
	v_pk_add_f32 v[8:9], v[8:9], v[16:17]
	;; [unrolled: 3-line block ×5, first 2 shown]
	v_pk_fma_f32 v[64:65], v[0:1], v[32:33], v[58:59] op_sel:[1,0,1] op_sel_hi:[1,1,0]
	v_pk_fma_f32 v[58:59], v[0:1], v[32:33], v[58:59] op_sel:[1,0,1] op_sel_hi:[1,1,0] neg_lo:[1,0,0] neg_hi:[1,0,0]
	v_mov_b32_e32 v6, v66
	v_mov_b32_e32 v7, v69
	v_pk_add_f32 v[8:9], v[10:11], v[8:9]
	v_mov_b32_e32 v0, v64
	v_mov_b32_e32 v1, v59
	v_pk_add_f32 v[6:7], v[6:7], v[8:9]
	v_add_u32_e32 v9, 0x3b8, v160
	v_pk_add_f32 v[0:1], v[0:1], v[6:7]
	global_store_dwordx2 v[2:3], v[0:1], off
	v_mad_u64_u32 v[0:1], s[0:1], s17, v80, v[18:19]
	v_add_u32_e32 v3, 0x110, v160
	v_mov_b32_e32 v57, v0
	v_mad_u64_u32 v[0:1], s[0:1], s16, v3, 0
	v_mov_b32_e32 v2, v1
	v_mad_u64_u32 v[2:3], s[0:1], s17, v3, v[2:3]
	v_mov_b32_e32 v1, v2
	v_add_u32_e32 v3, 0x198, v160
	v_lshl_add_u64 v[80:81], v[0:1], 3, v[42:43]
	v_mad_u64_u32 v[0:1], s[0:1], s16, v3, 0
	v_mov_b32_e32 v2, v1
	v_mad_u64_u32 v[2:3], s[0:1], s17, v3, v[2:3]
	v_mov_b32_e32 v1, v2
	v_add_u32_e32 v3, 0x220, v160
	v_lshl_add_u64 v[28:29], v[0:1], 3, v[42:43]
	;; [unrolled: 6-line block ×3, first 2 shown]
	v_mad_u64_u32 v[0:1], s[0:1], s16, v3, 0
	v_mov_b32_e32 v2, v1
	v_mad_u64_u32 v[2:3], s[0:1], s17, v3, v[2:3]
	v_add_u32_e32 v7, 0x330, v160
	v_mov_b32_e32 v1, v2
	v_mad_u64_u32 v[2:3], s[0:1], s16, v7, 0
	v_mov_b32_e32 v6, v3
	v_mad_u64_u32 v[6:7], s[0:1], s17, v7, v[6:7]
	;; [unrolled: 2-line block ×4, first 2 shown]
	v_add_u32_e32 v11, 0x440, v160
	v_mov_b32_e32 v7, v8
	v_mad_u64_u32 v[8:9], s[0:1], s16, v11, 0
	v_mov_b32_e32 v10, v9
	v_mad_u64_u32 v[10:11], s[0:1], s17, v11, v[10:11]
	v_add_u32_e32 v13, 0x4c8, v160
	v_mov_b32_e32 v9, v10
	v_mad_u64_u32 v[10:11], s[0:1], s16, v13, 0
	v_mov_b32_e32 v12, v11
	v_mad_u64_u32 v[12:13], s[0:1], s17, v13, v[12:13]
	;; [unrolled: 5-line block ×3, first 2 shown]
	v_mov_b32_e32 v13, v16
	v_pk_add_f32 v[26:27], v[52:53], v[64:65]
	v_pk_add_f32 v[16:17], v[52:53], v[64:65] neg_lo:[0,1] neg_hi:[0,1]
	v_mov_b32_e32 v18, v53
	v_mov_b32_e32 v27, v16
	;; [unrolled: 1-line block ×3, first 2 shown]
	s_mov_b32 s16, 0x3f575c64
	v_pk_add_f32 v[32:33], v[16:17], v[58:59] op_sel:[0,1] neg_lo:[0,1] neg_hi:[0,1]
	v_pk_add_f32 v[16:17], v[18:19], v[58:59] op_sel_hi:[0,1]
	v_pk_add_f32 v[30:31], v[70:71], v[66:67]
	v_pk_add_f32 v[18:19], v[70:71], v[66:67] neg_lo:[0,1] neg_hi:[0,1]
	s_mov_b32 s17, 0xbf0a6770
	v_lshl_add_u64 v[56:57], v[56:57], 3, v[42:43]
	v_lshl_add_u64 v[0:1], v[0:1], 3, v[42:43]
	;; [unrolled: 1-line block ×7, first 2 shown]
	v_mov_b32_e32 v16, v32
	v_mov_b32_e32 v31, v18
	v_pk_add_f32 v[36:37], v[20:21], v[68:69] neg_lo:[0,1] neg_hi:[0,1]
	v_pk_add_f32 v[18:19], v[20:21], v[68:69]
	v_pk_add_f32 v[34:35], v[74:75], v[60:61]
	v_pk_add_f32 v[20:21], v[74:75], v[60:61] neg_lo:[0,1] neg_hi:[0,1]
	v_pk_add_f32 v[42:43], v[48:49], v[62:63]
	v_pk_add_f32 v[46:47], v[48:49], v[62:63] neg_lo:[0,1] neg_hi:[0,1]
	v_pk_mul_f32 v[48:49], v[26:27], s[16:17]
	s_mov_b32 s12, s17
	s_mov_b32 s13, s16
	v_mov_b32_e32 v18, v37
	v_mov_b32_e32 v35, v20
	v_pk_add_f32 v[40:41], v[38:39], v[72:73] neg_lo:[0,1] neg_hi:[0,1]
	v_pk_add_f32 v[20:21], v[38:39], v[72:73]
	v_pk_add_f32 v[38:39], v[44:45], v[50:51]
	v_pk_add_f32 v[22:23], v[44:45], v[50:51] neg_lo:[0,1] neg_hi:[0,1]
	v_pk_mul_f32 v[50:51], v[30:31], s[2:3]
	v_pk_fma_f32 v[60:61], v[32:33], s[12:13], v[48:49] neg_lo:[1,0,0] neg_hi:[1,0,0]
	v_pk_fma_f32 v[62:63], v[16:17], s[12:13], v[48:49]
	v_pk_fma_f32 v[64:65], v[36:37], s[24:25], v[50:51] op_sel:[1,0,0] neg_lo:[1,0,0] neg_hi:[1,0,0]
	v_mov_b32_e32 v61, v63
	v_pk_fma_f32 v[66:67], v[18:19], s[24:25], v[50:51]
	v_mov_b32_e32 v20, v41
	v_pk_mul_f32 v[52:53], v[34:35], s[4:5]
	s_mov_b32 s0, s5
	s_mov_b32 s1, s4
	v_pk_add_f32 v[60:61], v[4:5], v[60:61]
	v_mov_b32_e32 v65, v67
	v_mov_b32_e32 v39, v22
	v_pk_add_f32 v[44:45], v[54:55], v[76:77] neg_lo:[0,1] neg_hi:[0,1]
	v_pk_add_f32 v[22:23], v[54:55], v[76:77]
	v_pk_add_f32 v[60:61], v[60:61], v[64:65]
	v_pk_fma_f32 v[64:65], v[40:41], s[0:1], v[52:53] op_sel:[1,0,0] neg_lo:[1,0,0] neg_hi:[1,0,0]
	v_pk_fma_f32 v[68:69], v[20:21], s[0:1], v[52:53]
	v_pk_fma_f32 v[48:49], v[16:17], s[12:13], v[48:49] neg_lo:[0,0,1] neg_hi:[0,0,1]
	v_mov_b32_e32 v22, v45
	v_pk_mul_f32 v[54:55], v[38:39], s[10:11]
	v_mov_b32_e32 v65, v69
	v_mov_b32_e32 v63, v49
	v_pk_fma_f32 v[50:51], v[18:19], s[24:25], v[50:51] neg_lo:[0,0,1] neg_hi:[0,0,1]
	v_mov_b32_e32 v43, v46
	v_pk_add_f32 v[46:47], v[78:79], v[24:25] neg_lo:[0,1] neg_hi:[0,1]
	v_pk_add_f32 v[24:25], v[78:79], v[24:25]
	v_pk_add_f32 v[60:61], v[60:61], v[64:65]
	v_pk_fma_f32 v[64:65], v[44:45], s[6:7], v[54:55] op_sel:[1,0,0] neg_lo:[1,0,0] neg_hi:[1,0,0]
	v_pk_fma_f32 v[70:71], v[22:23], s[6:7], v[54:55]
	v_pk_add_f32 v[48:49], v[4:5], v[62:63]
	v_mov_b32_e32 v67, v51
	v_pk_fma_f32 v[50:51], v[20:21], s[0:1], v[52:53] neg_lo:[0,0,1] neg_hi:[0,0,1]
	v_mov_b32_e32 v24, v47
	v_pk_mul_f32 v[58:59], v[42:43], s[14:15]
	v_mov_b32_e32 v65, v71
	v_pk_add_f32 v[48:49], v[48:49], v[66:67]
	v_mov_b32_e32 v69, v51
	v_pk_fma_f32 v[50:51], v[22:23], s[6:7], v[54:55] neg_lo:[0,0,1] neg_hi:[0,0,1]
	v_pk_add_f32 v[60:61], v[60:61], v[64:65]
	v_pk_fma_f32 v[64:65], v[46:47], s[8:9], v[58:59] op_sel:[1,0,0] neg_lo:[1,0,0] neg_hi:[1,0,0]
	v_pk_fma_f32 v[72:73], v[24:25], s[8:9], v[58:59]
	v_pk_add_f32 v[48:49], v[48:49], v[68:69]
	v_mov_b32_e32 v71, v51
	v_pk_fma_f32 v[50:51], v[24:25], s[8:9], v[58:59] neg_lo:[0,0,1] neg_hi:[0,0,1]
	v_mov_b32_e32 v65, v73
	v_pk_add_f32 v[48:49], v[48:49], v[70:71]
	v_mov_b32_e32 v73, v51
	v_pk_add_f32 v[48:49], v[48:49], v[72:73]
	global_store_dwordx2 v[56:57], v[48:49], off
	v_pk_mul_f32 v[48:49], v[26:27], s[2:3]
	v_pk_mul_f32 v[50:51], v[30:31], s[10:11]
	v_pk_fma_f32 v[58:59], v[32:33], s[24:25], v[48:49] neg_lo:[1,0,0] neg_hi:[1,0,0]
	v_pk_fma_f32 v[62:63], v[16:17], s[24:25], v[48:49]
	v_pk_add_f32 v[60:61], v[60:61], v[64:65]
	v_mov_b32_e32 v59, v63
	v_pk_fma_f32 v[64:65], v[36:37], s[6:7], v[50:51] op_sel:[1,0,0] neg_lo:[1,0,0] neg_hi:[1,0,0]
	v_pk_fma_f32 v[66:67], v[18:19], s[6:7], v[50:51]
	v_pk_mul_f32 v[52:53], v[34:35], s[30:31]
	v_pk_add_f32 v[58:59], v[4:5], v[58:59]
	v_mov_b32_e32 v65, v67
	v_pk_add_f32 v[58:59], v[58:59], v[64:65]
	v_pk_fma_f32 v[64:65], v[40:41], s[28:29], v[52:53] op_sel:[1,0,0] neg_lo:[1,0,0] neg_hi:[1,0,0]
	v_pk_fma_f32 v[68:69], v[20:21], s[28:29], v[52:53]
	v_pk_fma_f32 v[48:49], v[16:17], s[24:25], v[48:49] neg_lo:[0,0,1] neg_hi:[0,0,1]
	v_pk_mul_f32 v[54:55], v[38:39], s[26:27]
	v_mov_b32_e32 v65, v69
	v_mov_b32_e32 v63, v49
	v_pk_fma_f32 v[50:51], v[18:19], s[6:7], v[50:51] neg_lo:[0,0,1] neg_hi:[0,0,1]
	s_mov_b32 s20, s16
	v_pk_add_f32 v[58:59], v[58:59], v[64:65]
	v_pk_fma_f32 v[64:65], v[44:45], s[22:23], v[54:55] op_sel:[1,0,0] neg_lo:[1,0,0] neg_hi:[1,0,0]
	v_pk_fma_f32 v[70:71], v[22:23], s[22:23], v[54:55]
	v_pk_add_f32 v[48:49], v[4:5], v[62:63]
	v_mov_b32_e32 v67, v51
	v_pk_fma_f32 v[50:51], v[20:21], s[28:29], v[52:53] neg_lo:[0,0,1] neg_hi:[0,0,1]
	v_pk_mul_f32 v[56:57], v[42:43], s[20:21]
	s_mov_b32 s19, s16
	v_mov_b32_e32 v65, v71
	v_pk_add_f32 v[48:49], v[48:49], v[66:67]
	v_mov_b32_e32 v69, v51
	v_pk_fma_f32 v[50:51], v[22:23], s[22:23], v[54:55] neg_lo:[0,0,1] neg_hi:[0,0,1]
	v_pk_add_f32 v[58:59], v[58:59], v[64:65]
	v_pk_fma_f32 v[64:65], v[46:47], s[18:19], v[56:57] op_sel:[1,0,0] neg_lo:[1,0,0] neg_hi:[1,0,0]
	v_pk_fma_f32 v[72:73], v[24:25], s[18:19], v[56:57]
	v_pk_add_f32 v[48:49], v[48:49], v[68:69]
	v_mov_b32_e32 v71, v51
	v_pk_fma_f32 v[50:51], v[24:25], s[18:19], v[56:57] neg_lo:[0,0,1] neg_hi:[0,0,1]
	v_mov_b32_e32 v65, v73
	v_pk_add_f32 v[48:49], v[48:49], v[70:71]
	v_mov_b32_e32 v73, v51
	v_pk_add_f32 v[48:49], v[48:49], v[72:73]
	global_store_dwordx2 v[80:81], v[48:49], off
	v_pk_mul_f32 v[48:49], v[26:27], s[4:5]
	v_pk_mul_f32 v[54:55], v[30:31], s[30:31]
	v_pk_fma_f32 v[50:51], v[32:33], s[0:1], v[48:49] neg_lo:[1,0,0] neg_hi:[1,0,0]
	v_pk_fma_f32 v[52:53], v[16:17], s[0:1], v[48:49]
	v_pk_fma_f32 v[56:57], v[36:37], s[28:29], v[54:55] op_sel:[1,0,0] neg_lo:[1,0,0] neg_hi:[1,0,0]
	v_mov_b32_e32 v51, v53
	v_pk_fma_f32 v[62:63], v[18:19], s[28:29], v[54:55]
	v_pk_add_f32 v[50:51], v[4:5], v[50:51]
	v_mov_b32_e32 v57, v63
	s_mov_b32 s3, 0x3f68dda4
	v_pk_add_f32 v[50:51], v[50:51], v[56:57]
	v_pk_mul_f32 v[56:57], v[34:35], s[2:3]
	s_mov_b32 s24, s3
	v_pk_add_f32 v[58:59], v[58:59], v[64:65]
	v_pk_fma_f32 v[64:65], v[40:41], s[24:25], v[56:57] op_sel:[1,0,0] neg_lo:[1,0,0] neg_hi:[1,0,0]
	v_pk_fma_f32 v[66:67], v[20:21], s[24:25], v[56:57]
	v_pk_fma_f32 v[48:49], v[16:17], s[0:1], v[48:49] neg_lo:[0,0,1] neg_hi:[0,0,1]
	v_mov_b32_e32 v65, v67
	v_pk_add_f32 v[50:51], v[50:51], v[64:65]
	v_pk_mul_f32 v[64:65], v[38:39], s[16:17]
	v_mov_b32_e32 v53, v49
	v_pk_fma_f32 v[68:69], v[44:45], s[12:13], v[64:65] op_sel:[1,0,0] neg_lo:[1,0,0] neg_hi:[1,0,0]
	v_pk_fma_f32 v[70:71], v[22:23], s[12:13], v[64:65]
	v_pk_add_f32 v[48:49], v[4:5], v[52:53]
	v_pk_fma_f32 v[52:53], v[18:19], s[28:29], v[54:55] neg_lo:[0,0,1] neg_hi:[0,0,1]
	v_mov_b32_e32 v69, v71
	v_mov_b32_e32 v63, v53
	v_pk_fma_f32 v[52:53], v[20:21], s[24:25], v[56:57] neg_lo:[0,0,1] neg_hi:[0,0,1]
	v_pk_add_f32 v[50:51], v[50:51], v[68:69]
	v_pk_mul_f32 v[68:69], v[42:43], s[10:11]
	v_pk_add_f32 v[48:49], v[48:49], v[62:63]
	v_mov_b32_e32 v67, v53
	v_pk_fma_f32 v[52:53], v[22:23], s[12:13], v[64:65] neg_lo:[0,0,1] neg_hi:[0,0,1]
	v_pk_fma_f32 v[72:73], v[46:47], s[6:7], v[68:69] op_sel:[1,0,0] neg_lo:[1,0,0] neg_hi:[1,0,0]
	v_pk_fma_f32 v[74:75], v[24:25], s[6:7], v[68:69]
	v_pk_add_f32 v[48:49], v[48:49], v[66:67]
	v_mov_b32_e32 v71, v53
	v_pk_fma_f32 v[52:53], v[24:25], s[6:7], v[68:69] neg_lo:[0,0,1] neg_hi:[0,0,1]
	v_mov_b32_e32 v73, v75
	v_pk_add_f32 v[48:49], v[48:49], v[70:71]
	v_mov_b32_e32 v75, v53
	v_pk_add_f32 v[48:49], v[48:49], v[74:75]
	global_store_dwordx2 v[28:29], v[48:49], off
	v_pk_mul_f32 v[28:29], v[26:27], s[10:11]
	v_pk_mul_f32 v[54:55], v[30:31], s[26:27]
	v_pk_fma_f32 v[48:49], v[32:33], s[6:7], v[28:29] neg_lo:[1,0,0] neg_hi:[1,0,0]
	v_pk_fma_f32 v[52:53], v[16:17], s[6:7], v[28:29]
	v_pk_fma_f32 v[56:57], v[36:37], s[22:23], v[54:55] op_sel:[1,0,0] neg_lo:[1,0,0] neg_hi:[1,0,0]
	v_mov_b32_e32 v49, v53
	v_pk_fma_f32 v[62:63], v[18:19], s[22:23], v[54:55]
	v_pk_add_f32 v[48:49], v[4:5], v[48:49]
	v_mov_b32_e32 v57, v63
	v_pk_add_f32 v[48:49], v[48:49], v[56:57]
	v_pk_mul_f32 v[56:57], v[34:35], s[16:17]
	v_pk_fma_f32 v[28:29], v[16:17], s[6:7], v[28:29] neg_lo:[0,0,1] neg_hi:[0,0,1]
	v_pk_fma_f32 v[64:65], v[40:41], s[12:13], v[56:57] op_sel:[1,0,0] neg_lo:[1,0,0] neg_hi:[1,0,0]
	v_pk_fma_f32 v[66:67], v[20:21], s[12:13], v[56:57]
	v_mov_b32_e32 v53, v29
	v_mov_b32_e32 v65, v67
	v_pk_add_f32 v[48:49], v[48:49], v[64:65]
	v_pk_mul_f32 v[64:65], v[38:39], s[14:15]
	v_pk_add_f32 v[28:29], v[4:5], v[52:53]
	v_pk_fma_f32 v[68:69], v[44:45], s[8:9], v[64:65] op_sel:[1,0,0] neg_lo:[1,0,0] neg_hi:[1,0,0]
	v_pk_fma_f32 v[70:71], v[22:23], s[8:9], v[64:65]
	v_pk_fma_f32 v[52:53], v[18:19], s[22:23], v[54:55] neg_lo:[0,0,1] neg_hi:[0,0,1]
	v_mov_b32_e32 v69, v71
	v_mov_b32_e32 v63, v53
	v_pk_fma_f32 v[52:53], v[20:21], s[12:13], v[56:57] neg_lo:[0,0,1] neg_hi:[0,0,1]
	v_pk_add_f32 v[48:49], v[48:49], v[68:69]
	v_pk_mul_f32 v[68:69], v[42:43], s[2:3]
	v_pk_add_f32 v[28:29], v[28:29], v[62:63]
	v_mov_b32_e32 v67, v53
	v_pk_fma_f32 v[52:53], v[22:23], s[8:9], v[64:65] neg_lo:[0,0,1] neg_hi:[0,0,1]
	v_pk_add_f32 v[50:51], v[50:51], v[72:73]
	v_pk_fma_f32 v[72:73], v[46:47], s[24:25], v[68:69] op_sel:[1,0,0] neg_lo:[1,0,0] neg_hi:[1,0,0]
	v_pk_fma_f32 v[74:75], v[24:25], s[24:25], v[68:69]
	v_pk_add_f32 v[28:29], v[28:29], v[66:67]
	v_mov_b32_e32 v71, v53
	v_pk_fma_f32 v[52:53], v[24:25], s[24:25], v[68:69] neg_lo:[0,0,1] neg_hi:[0,0,1]
	v_mov_b32_e32 v73, v75
	v_pk_add_f32 v[28:29], v[28:29], v[70:71]
	v_mov_b32_e32 v75, v53
	v_pk_add_f32 v[28:29], v[28:29], v[74:75]
	global_store_dwordx2 v[14:15], v[28:29], off
	v_pk_mul_f32 v[14:15], v[26:27], s[14:15]
	v_pk_mul_f32 v[30:31], v[30:31], s[20:21]
	v_pk_fma_f32 v[26:27], v[32:33], s[8:9], v[14:15] neg_lo:[1,0,0] neg_hi:[1,0,0]
	v_pk_fma_f32 v[28:29], v[16:17], s[8:9], v[14:15]
	v_pk_fma_f32 v[32:33], v[36:37], s[18:19], v[30:31] op_sel:[1,0,0] neg_lo:[1,0,0] neg_hi:[1,0,0]
	v_mov_b32_e32 v27, v29
	v_pk_fma_f32 v[36:37], v[18:19], s[18:19], v[30:31]
	v_pk_add_f32 v[26:27], v[4:5], v[26:27]
	v_mov_b32_e32 v33, v37
	v_pk_add_f32 v[26:27], v[26:27], v[32:33]
	v_pk_mul_f32 v[32:33], v[34:35], s[10:11]
	v_pk_fma_f32 v[14:15], v[16:17], s[8:9], v[14:15] neg_lo:[0,0,1] neg_hi:[0,0,1]
	v_pk_fma_f32 v[34:35], v[40:41], s[6:7], v[32:33] op_sel:[1,0,0] neg_lo:[1,0,0] neg_hi:[1,0,0]
	v_pk_fma_f32 v[40:41], v[20:21], s[6:7], v[32:33]
	v_mov_b32_e32 v29, v15
	v_mov_b32_e32 v35, v41
	v_pk_add_f32 v[26:27], v[26:27], v[34:35]
	v_pk_mul_f32 v[34:35], v[38:39], s[2:3]
	v_pk_fma_f32 v[14:15], v[18:19], s[18:19], v[30:31] neg_lo:[0,0,1] neg_hi:[0,0,1]
	v_pk_fma_f32 v[38:39], v[44:45], s[24:25], v[34:35] op_sel:[1,0,0] neg_lo:[1,0,0] neg_hi:[1,0,0]
	v_pk_fma_f32 v[44:45], v[22:23], s[24:25], v[34:35]
	v_pk_add_f32 v[4:5], v[4:5], v[28:29]
	v_mov_b32_e32 v39, v45
	v_mov_b32_e32 v37, v15
	v_pk_fma_f32 v[14:15], v[20:21], s[6:7], v[32:33] neg_lo:[0,0,1] neg_hi:[0,0,1]
	v_pk_add_f32 v[26:27], v[26:27], v[38:39]
	v_pk_mul_f32 v[38:39], v[42:43], s[4:5]
	v_pk_add_f32 v[4:5], v[4:5], v[36:37]
	v_mov_b32_e32 v41, v15
	v_pk_fma_f32 v[14:15], v[22:23], s[24:25], v[34:35] neg_lo:[0,0,1] neg_hi:[0,0,1]
	v_pk_fma_f32 v[42:43], v[46:47], s[0:1], v[38:39] op_sel:[1,0,0] neg_lo:[1,0,0] neg_hi:[1,0,0]
	v_pk_fma_f32 v[46:47], v[24:25], s[0:1], v[38:39]
	v_pk_add_f32 v[4:5], v[4:5], v[40:41]
	v_mov_b32_e32 v45, v15
	v_pk_fma_f32 v[14:15], v[24:25], s[0:1], v[38:39] neg_lo:[0,0,1] neg_hi:[0,0,1]
	v_mov_b32_e32 v43, v47
	v_pk_add_f32 v[4:5], v[4:5], v[44:45]
	v_mov_b32_e32 v47, v15
	v_pk_add_f32 v[4:5], v[4:5], v[46:47]
	v_pk_add_f32 v[48:49], v[48:49], v[72:73]
	;; [unrolled: 1-line block ×3, first 2 shown]
	global_store_dwordx2 v[0:1], v[4:5], off
	global_store_dwordx2 v[2:3], v[26:27], off
	global_store_dwordx2 v[6:7], v[48:49], off
	global_store_dwordx2 v[8:9], v[50:51], off
	global_store_dwordx2 v[10:11], v[58:59], off
	global_store_dwordx2 v[12:13], v[60:61], off
	s_endpgm
	.section	.rodata,"a",@progbits
	.p2align	6, 0x0
	.amdhsa_kernel fft_rtc_back_len1496_factors_17_8_11_wgs_187_tpt_187_halfLds_sp_op_CI_CI_sbrr_dirReg
		.amdhsa_group_segment_fixed_size 0
		.amdhsa_private_segment_fixed_size 0
		.amdhsa_kernarg_size 104
		.amdhsa_user_sgpr_count 2
		.amdhsa_user_sgpr_dispatch_ptr 0
		.amdhsa_user_sgpr_queue_ptr 0
		.amdhsa_user_sgpr_kernarg_segment_ptr 1
		.amdhsa_user_sgpr_dispatch_id 0
		.amdhsa_user_sgpr_kernarg_preload_length 0
		.amdhsa_user_sgpr_kernarg_preload_offset 0
		.amdhsa_user_sgpr_private_segment_size 0
		.amdhsa_uses_dynamic_stack 0
		.amdhsa_enable_private_segment 0
		.amdhsa_system_sgpr_workgroup_id_x 1
		.amdhsa_system_sgpr_workgroup_id_y 0
		.amdhsa_system_sgpr_workgroup_id_z 0
		.amdhsa_system_sgpr_workgroup_info 0
		.amdhsa_system_vgpr_workitem_id 0
		.amdhsa_next_free_vgpr 186
		.amdhsa_next_free_sgpr 60
		.amdhsa_accum_offset 188
		.amdhsa_reserve_vcc 1
		.amdhsa_float_round_mode_32 0
		.amdhsa_float_round_mode_16_64 0
		.amdhsa_float_denorm_mode_32 3
		.amdhsa_float_denorm_mode_16_64 3
		.amdhsa_dx10_clamp 1
		.amdhsa_ieee_mode 1
		.amdhsa_fp16_overflow 0
		.amdhsa_tg_split 0
		.amdhsa_exception_fp_ieee_invalid_op 0
		.amdhsa_exception_fp_denorm_src 0
		.amdhsa_exception_fp_ieee_div_zero 0
		.amdhsa_exception_fp_ieee_overflow 0
		.amdhsa_exception_fp_ieee_underflow 0
		.amdhsa_exception_fp_ieee_inexact 0
		.amdhsa_exception_int_div_zero 0
	.end_amdhsa_kernel
	.text
.Lfunc_end0:
	.size	fft_rtc_back_len1496_factors_17_8_11_wgs_187_tpt_187_halfLds_sp_op_CI_CI_sbrr_dirReg, .Lfunc_end0-fft_rtc_back_len1496_factors_17_8_11_wgs_187_tpt_187_halfLds_sp_op_CI_CI_sbrr_dirReg
                                        ; -- End function
	.section	.AMDGPU.csdata,"",@progbits
; Kernel info:
; codeLenInByte = 12168
; NumSgprs: 66
; NumVgprs: 186
; NumAgprs: 0
; TotalNumVgprs: 186
; ScratchSize: 0
; MemoryBound: 0
; FloatMode: 240
; IeeeMode: 1
; LDSByteSize: 0 bytes/workgroup (compile time only)
; SGPRBlocks: 8
; VGPRBlocks: 23
; NumSGPRsForWavesPerEU: 66
; NumVGPRsForWavesPerEU: 186
; AccumOffset: 188
; Occupancy: 2
; WaveLimiterHint : 1
; COMPUTE_PGM_RSRC2:SCRATCH_EN: 0
; COMPUTE_PGM_RSRC2:USER_SGPR: 2
; COMPUTE_PGM_RSRC2:TRAP_HANDLER: 0
; COMPUTE_PGM_RSRC2:TGID_X_EN: 1
; COMPUTE_PGM_RSRC2:TGID_Y_EN: 0
; COMPUTE_PGM_RSRC2:TGID_Z_EN: 0
; COMPUTE_PGM_RSRC2:TIDIG_COMP_CNT: 0
; COMPUTE_PGM_RSRC3_GFX90A:ACCUM_OFFSET: 46
; COMPUTE_PGM_RSRC3_GFX90A:TG_SPLIT: 0
	.text
	.p2alignl 6, 3212836864
	.fill 256, 4, 3212836864
	.type	__hip_cuid_1d7dc4ec53243213,@object ; @__hip_cuid_1d7dc4ec53243213
	.section	.bss,"aw",@nobits
	.globl	__hip_cuid_1d7dc4ec53243213
__hip_cuid_1d7dc4ec53243213:
	.byte	0                               ; 0x0
	.size	__hip_cuid_1d7dc4ec53243213, 1

	.ident	"AMD clang version 19.0.0git (https://github.com/RadeonOpenCompute/llvm-project roc-6.4.0 25133 c7fe45cf4b819c5991fe208aaa96edf142730f1d)"
	.section	".note.GNU-stack","",@progbits
	.addrsig
	.addrsig_sym __hip_cuid_1d7dc4ec53243213
	.amdgpu_metadata
---
amdhsa.kernels:
  - .agpr_count:     0
    .args:
      - .actual_access:  read_only
        .address_space:  global
        .offset:         0
        .size:           8
        .value_kind:     global_buffer
      - .offset:         8
        .size:           8
        .value_kind:     by_value
      - .actual_access:  read_only
        .address_space:  global
        .offset:         16
        .size:           8
        .value_kind:     global_buffer
      - .actual_access:  read_only
        .address_space:  global
        .offset:         24
        .size:           8
        .value_kind:     global_buffer
      - .actual_access:  read_only
        .address_space:  global
        .offset:         32
        .size:           8
        .value_kind:     global_buffer
      - .offset:         40
        .size:           8
        .value_kind:     by_value
      - .actual_access:  read_only
        .address_space:  global
        .offset:         48
        .size:           8
        .value_kind:     global_buffer
      - .actual_access:  read_only
        .address_space:  global
        .offset:         56
        .size:           8
        .value_kind:     global_buffer
      - .offset:         64
        .size:           4
        .value_kind:     by_value
      - .actual_access:  read_only
        .address_space:  global
        .offset:         72
        .size:           8
        .value_kind:     global_buffer
      - .actual_access:  read_only
        .address_space:  global
        .offset:         80
        .size:           8
        .value_kind:     global_buffer
      - .actual_access:  read_only
        .address_space:  global
        .offset:         88
        .size:           8
        .value_kind:     global_buffer
      - .actual_access:  write_only
        .address_space:  global
        .offset:         96
        .size:           8
        .value_kind:     global_buffer
    .group_segment_fixed_size: 0
    .kernarg_segment_align: 8
    .kernarg_segment_size: 104
    .language:       OpenCL C
    .language_version:
      - 2
      - 0
    .max_flat_workgroup_size: 187
    .name:           fft_rtc_back_len1496_factors_17_8_11_wgs_187_tpt_187_halfLds_sp_op_CI_CI_sbrr_dirReg
    .private_segment_fixed_size: 0
    .sgpr_count:     66
    .sgpr_spill_count: 0
    .symbol:         fft_rtc_back_len1496_factors_17_8_11_wgs_187_tpt_187_halfLds_sp_op_CI_CI_sbrr_dirReg.kd
    .uniform_work_group_size: 1
    .uses_dynamic_stack: false
    .vgpr_count:     186
    .vgpr_spill_count: 0
    .wavefront_size: 64
amdhsa.target:   amdgcn-amd-amdhsa--gfx950
amdhsa.version:
  - 1
  - 2
...

	.end_amdgpu_metadata
